;; amdgpu-corpus repo=ROCm/rocFFT kind=compiled arch=gfx906 opt=O3
	.text
	.amdgcn_target "amdgcn-amd-amdhsa--gfx906"
	.amdhsa_code_object_version 6
	.protected	bluestein_single_back_len1836_dim1_sp_op_CI_CI ; -- Begin function bluestein_single_back_len1836_dim1_sp_op_CI_CI
	.globl	bluestein_single_back_len1836_dim1_sp_op_CI_CI
	.p2align	8
	.type	bluestein_single_back_len1836_dim1_sp_op_CI_CI,@function
bluestein_single_back_len1836_dim1_sp_op_CI_CI: ; @bluestein_single_back_len1836_dim1_sp_op_CI_CI
; %bb.0:
	s_mov_b64 s[22:23], s[2:3]
	s_mov_b64 s[20:21], s[0:1]
	s_load_dwordx4 s[0:3], s[4:5], 0x28
	v_mul_u32_u24_e32 v1, 0x1ad, v0
	v_add_u32_sdwa v178, s6, v1 dst_sel:DWORD dst_unused:UNUSED_PAD src0_sel:DWORD src1_sel:WORD_1
	v_mov_b32_e32 v179, 0
	s_add_u32 s20, s20, s7
	s_waitcnt lgkmcnt(0)
	v_cmp_gt_u64_e32 vcc, s[0:1], v[178:179]
	s_addc_u32 s21, s21, 0
	s_and_saveexec_b64 s[0:1], vcc
	s_cbranch_execz .LBB0_15
; %bb.1:
	s_load_dwordx2 s[8:9], s[4:5], 0x0
	s_load_dwordx2 s[10:11], s[4:5], 0x38
	s_movk_i32 s0, 0x99
	v_mul_lo_u16_sdwa v1, v1, s0 dst_sel:DWORD dst_unused:UNUSED_PAD src0_sel:WORD_1 src1_sel:DWORD
	v_sub_u16_e32 v110, v0, v1
	s_movk_i32 s0, 0x6c
	v_cmp_gt_u16_e64 s[0:1], s0, v110
	v_lshlrev_b32_e32 v109, 3, v110
	s_and_saveexec_b64 s[6:7], s[0:1]
	s_cbranch_execz .LBB0_3
; %bb.2:
	s_load_dwordx2 s[12:13], s[4:5], 0x18
	s_waitcnt lgkmcnt(0)
	s_load_dwordx4 s[12:15], s[12:13], 0x0
	s_waitcnt lgkmcnt(0)
	v_mad_u64_u32 v[0:1], s[16:17], s14, v178, 0
	v_mad_u64_u32 v[2:3], s[16:17], s12, v110, 0
	;; [unrolled: 1-line block ×4, first 2 shown]
	v_mov_b32_e32 v1, v4
	v_lshlrev_b64 v[0:1], 3, v[0:1]
	v_mov_b32_e32 v3, v5
	v_mov_b32_e32 v6, s3
	v_lshlrev_b64 v[2:3], 3, v[2:3]
	v_add_co_u32_e32 v0, vcc, s2, v0
	v_addc_co_u32_e32 v1, vcc, v6, v1, vcc
	v_add_co_u32_e32 v0, vcc, v0, v2
	v_addc_co_u32_e32 v1, vcc, v1, v3, vcc
	v_mov_b32_e32 v2, s9
	v_add_co_u32_e32 v64, vcc, s8, v109
	s_mul_i32 s2, s13, 0x360
	s_mul_hi_u32 s3, s12, 0x360
	v_addc_co_u32_e32 v65, vcc, 0, v2, vcc
	s_add_i32 s2, s3, s2
	s_mul_i32 s3, s12, 0x360
	v_mov_b32_e32 v3, s2
	v_add_co_u32_e32 v2, vcc, s3, v0
	v_addc_co_u32_e32 v3, vcc, v1, v3, vcc
	v_mov_b32_e32 v5, s2
	v_add_co_u32_e32 v4, vcc, s3, v2
	v_addc_co_u32_e32 v5, vcc, v3, v5, vcc
	;; [unrolled: 3-line block ×3, first 2 shown]
	global_load_dwordx2 v[8:9], v[0:1], off
	global_load_dwordx2 v[10:11], v[2:3], off
	;; [unrolled: 1-line block ×4, first 2 shown]
	global_load_dwordx2 v[16:17], v109, s[8:9]
	global_load_dwordx2 v[18:19], v109, s[8:9] offset:864
	global_load_dwordx2 v[20:21], v109, s[8:9] offset:1728
	;; [unrolled: 1-line block ×3, first 2 shown]
	v_mov_b32_e32 v1, s2
	v_add_co_u32_e32 v0, vcc, s3, v6
	v_addc_co_u32_e32 v1, vcc, v7, v1, vcc
	global_load_dwordx2 v[2:3], v[0:1], off
	global_load_dwordx2 v[4:5], v109, s[8:9] offset:3456
	v_mov_b32_e32 v6, s2
	v_add_co_u32_e32 v0, vcc, s3, v0
	v_addc_co_u32_e32 v1, vcc, v1, v6, vcc
	s_movk_i32 s12, 0x1000
	v_add_co_u32_e32 v24, vcc, s12, v64
	v_addc_co_u32_e32 v25, vcc, 0, v65, vcc
	global_load_dwordx2 v[6:7], v[0:1], off
	v_mov_b32_e32 v26, s2
	v_add_co_u32_e32 v0, vcc, s3, v0
	v_addc_co_u32_e32 v1, vcc, v1, v26, vcc
	global_load_dwordx2 v[26:27], v[0:1], off
	v_mov_b32_e32 v28, s2
	;; [unrolled: 4-line block ×3, first 2 shown]
	v_add_co_u32_e32 v0, vcc, s3, v0
	v_addc_co_u32_e32 v1, vcc, v1, v30, vcc
	global_load_dwordx2 v[30:31], v[0:1], off
	global_load_dwordx2 v[32:33], v[24:25], off offset:224
	global_load_dwordx2 v[34:35], v[24:25], off offset:1088
	;; [unrolled: 1-line block ×4, first 2 shown]
	v_mov_b32_e32 v40, s2
	v_add_co_u32_e32 v0, vcc, s3, v0
	v_addc_co_u32_e32 v1, vcc, v1, v40, vcc
	global_load_dwordx2 v[40:41], v[0:1], off
	global_load_dwordx2 v[42:43], v[24:25], off offset:3680
	v_mov_b32_e32 v24, s2
	v_add_co_u32_e32 v0, vcc, s3, v0
	v_addc_co_u32_e32 v1, vcc, v1, v24, vcc
	s_movk_i32 s12, 0x2000
	v_add_co_u32_e32 v44, vcc, s12, v64
	v_addc_co_u32_e32 v45, vcc, 0, v65, vcc
	global_load_dwordx2 v[24:25], v[0:1], off
	v_mov_b32_e32 v46, s2
	v_add_co_u32_e32 v0, vcc, s3, v0
	v_addc_co_u32_e32 v1, vcc, v1, v46, vcc
	global_load_dwordx2 v[46:47], v[0:1], off
	v_mov_b32_e32 v48, s2
	;; [unrolled: 4-line block ×3, first 2 shown]
	v_add_co_u32_e32 v0, vcc, s3, v0
	v_addc_co_u32_e32 v1, vcc, v1, v50, vcc
	global_load_dwordx2 v[50:51], v[44:45], off offset:448
	global_load_dwordx2 v[52:53], v[0:1], off
	global_load_dwordx2 v[54:55], v[44:45], off offset:1312
	global_load_dwordx2 v[56:57], v[44:45], off offset:2176
	;; [unrolled: 1-line block ×3, first 2 shown]
	v_mov_b32_e32 v60, s2
	v_add_co_u32_e32 v0, vcc, s3, v0
	v_addc_co_u32_e32 v1, vcc, v1, v60, vcc
	global_load_dwordx2 v[60:61], v[0:1], off
	global_load_dwordx2 v[62:63], v[44:45], off offset:3904
	v_mov_b32_e32 v44, s2
	v_add_co_u32_e32 v0, vcc, s3, v0
	v_addc_co_u32_e32 v1, vcc, v1, v44, vcc
	s_movk_i32 s12, 0x3000
	v_add_co_u32_e32 v64, vcc, s12, v64
	v_addc_co_u32_e32 v65, vcc, 0, v65, vcc
	global_load_dwordx2 v[44:45], v[0:1], off
	global_load_dwordx2 v[66:67], v[64:65], off offset:672
	v_mov_b32_e32 v68, s2
	v_add_co_u32_e32 v0, vcc, s3, v0
	v_addc_co_u32_e32 v1, vcc, v1, v68, vcc
	global_load_dwordx2 v[68:69], v[0:1], off
	global_load_dwordx2 v[70:71], v[64:65], off offset:1536
	s_waitcnt vmcnt(29)
	v_mul_f32_e32 v0, v9, v17
	v_mul_f32_e32 v1, v8, v17
	v_fmac_f32_e32 v0, v8, v16
	v_fma_f32 v1, v9, v16, -v1
	s_waitcnt vmcnt(28)
	v_mul_f32_e32 v8, v11, v19
	v_mul_f32_e32 v9, v10, v19
	v_fmac_f32_e32 v8, v10, v18
	v_fma_f32 v9, v11, v18, -v9
	ds_write2_b64 v109, v[0:1], v[8:9] offset1:108
	s_waitcnt vmcnt(27)
	v_mul_f32_e32 v0, v13, v21
	v_mul_f32_e32 v1, v12, v21
	s_waitcnt vmcnt(26)
	v_mul_f32_e32 v8, v15, v23
	v_mul_f32_e32 v9, v14, v23
	v_fmac_f32_e32 v0, v12, v20
	v_fma_f32 v1, v13, v20, -v1
	v_fmac_f32_e32 v8, v14, v22
	v_fma_f32 v9, v15, v22, -v9
	v_add_u32_e32 v10, 0x400, v109
	ds_write2_b64 v10, v[0:1], v[8:9] offset0:88 offset1:196
	s_waitcnt vmcnt(24)
	v_mul_f32_e32 v0, v3, v5
	v_mul_f32_e32 v1, v2, v5
	v_fmac_f32_e32 v0, v2, v4
	v_fma_f32 v1, v3, v4, -v1
	s_waitcnt vmcnt(19)
	v_mul_f32_e32 v2, v7, v33
	v_mul_f32_e32 v3, v6, v33
	v_fmac_f32_e32 v2, v6, v32
	v_fma_f32 v3, v7, v32, -v3
	v_add_u32_e32 v4, 0xc00, v109
	ds_write2_b64 v4, v[0:1], v[2:3] offset0:48 offset1:156
	s_waitcnt vmcnt(18)
	v_mul_f32_e32 v0, v27, v35
	v_mul_f32_e32 v1, v26, v35
	s_waitcnt vmcnt(17)
	v_mul_f32_e32 v2, v29, v37
	v_mul_f32_e32 v3, v28, v37
	v_fmac_f32_e32 v0, v26, v34
	v_fma_f32 v1, v27, v34, -v1
	v_fmac_f32_e32 v2, v28, v36
	v_fma_f32 v3, v29, v36, -v3
	v_add_u32_e32 v4, 0x1000, v109
	ds_write2_b64 v4, v[0:1], v[2:3] offset0:136 offset1:244
	s_waitcnt vmcnt(16)
	v_mul_f32_e32 v0, v31, v39
	v_mul_f32_e32 v1, v30, v39
	s_waitcnt vmcnt(14)
	v_mul_f32_e32 v2, v41, v43
	v_mul_f32_e32 v3, v40, v43
	v_fmac_f32_e32 v0, v30, v38
	v_fma_f32 v1, v31, v38, -v1
	v_fmac_f32_e32 v2, v40, v42
	v_fma_f32 v3, v41, v42, -v3
	v_add_u32_e32 v4, 0x1800, v109
	ds_write2_b64 v4, v[0:1], v[2:3] offset0:96 offset1:204
	v_add_u32_e32 v4, 0x2000, v109
	s_waitcnt vmcnt(10)
	v_mul_f32_e32 v0, v25, v51
	v_mul_f32_e32 v1, v24, v51
	s_waitcnt vmcnt(8)
	v_mul_f32_e32 v2, v47, v55
	v_mul_f32_e32 v3, v46, v55
	v_fmac_f32_e32 v0, v24, v50
	v_fma_f32 v1, v25, v50, -v1
	v_fmac_f32_e32 v2, v46, v54
	v_fma_f32 v3, v47, v54, -v3
	ds_write2_b64 v4, v[0:1], v[2:3] offset0:56 offset1:164
	s_waitcnt vmcnt(7)
	v_mul_f32_e32 v0, v49, v57
	v_mul_f32_e32 v1, v48, v57
	s_waitcnt vmcnt(6)
	v_mul_f32_e32 v2, v53, v59
	v_mul_f32_e32 v3, v52, v59
	v_fmac_f32_e32 v0, v48, v56
	v_fma_f32 v1, v49, v56, -v1
	v_fmac_f32_e32 v2, v52, v58
	v_fma_f32 v3, v53, v58, -v3
	v_add_u32_e32 v4, 0x2800, v109
	ds_write2_b64 v4, v[0:1], v[2:3] offset0:16 offset1:124
	s_waitcnt vmcnt(4)
	v_mul_f32_e32 v0, v61, v63
	v_mul_f32_e32 v1, v60, v63
	v_fmac_f32_e32 v0, v60, v62
	s_waitcnt vmcnt(2)
	v_mul_f32_e32 v2, v45, v67
	v_mul_f32_e32 v3, v44, v67
	v_fma_f32 v1, v61, v62, -v1
	v_fmac_f32_e32 v2, v44, v66
	v_fma_f32 v3, v45, v66, -v3
	v_add_u32_e32 v4, 0x2c00, v109
	ds_write2_b64 v4, v[0:1], v[2:3] offset0:104 offset1:212
	s_waitcnt vmcnt(0)
	v_mul_f32_e32 v0, v69, v71
	v_mul_f32_e32 v1, v68, v71
	v_fmac_f32_e32 v0, v68, v70
	v_fma_f32 v1, v69, v70, -v1
	ds_write_b64 v109, v[0:1] offset:13824
.LBB0_3:
	s_or_b64 exec, exec, s[6:7]
	s_load_dwordx2 s[6:7], s[4:5], 0x20
	s_load_dwordx2 s[2:3], s[4:5], 0x8
	v_mov_b32_e32 v8, 0
	v_mov_b32_e32 v9, 0
	s_waitcnt lgkmcnt(0)
	s_barrier
	s_waitcnt lgkmcnt(0)
                                        ; implicit-def: $vgpr14
                                        ; implicit-def: $vgpr22
                                        ; implicit-def: $vgpr32
                                        ; implicit-def: $vgpr36
                                        ; implicit-def: $vgpr40
                                        ; implicit-def: $vgpr30
                                        ; implicit-def: $vgpr26
                                        ; implicit-def: $vgpr18
	s_and_saveexec_b64 s[4:5], s[0:1]
	s_cbranch_execz .LBB0_5
; %bb.4:
	v_add_u32_e32 v0, 0x400, v109
	ds_read2_b64 v[16:19], v0 offset0:88 offset1:196
	v_add_u32_e32 v0, 0xc00, v109
	ds_read2_b64 v[24:27], v0 offset0:48 offset1:156
	v_add_u32_e32 v0, 0x1000, v109
	ds_read2_b64 v[28:31], v0 offset0:136 offset1:244
	v_add_u32_e32 v0, 0x1800, v109
	ds_read2_b64 v[12:15], v0 offset0:96 offset1:204
	v_add_u32_e32 v0, 0x2000, v109
	ds_read2_b64 v[20:23], v0 offset0:56 offset1:164
	v_add_u32_e32 v0, 0x2800, v109
	ds_read2_b64 v[32:35], v0 offset0:16 offset1:124
	v_add_u32_e32 v0, 0x2c00, v109
	ds_read2_b64 v[8:11], v109 offset1:108
	ds_read2_b64 v[36:39], v0 offset0:104 offset1:212
	ds_read_b64 v[40:41], v109 offset:13824
.LBB0_5:
	s_or_b64 exec, exec, s[4:5]
	s_waitcnt lgkmcnt(0)
	v_sub_f32_e32 v69, v11, v41
	v_mul_f32_e32 v177, 0xbeb8f4ab, v69
	v_sub_f32_e32 v74, v17, v39
	v_add_f32_e32 v44, v40, v10
	v_sub_f32_e32 v72, v10, v40
	v_mov_b32_e32 v0, v177
	v_mul_f32_e32 v54, 0xbf2c7751, v74
	v_add_f32_e32 v45, v41, v11
	s_mov_b32 s12, 0x3f6eb680
	v_mul_f32_e32 v52, 0xbeb8f4ab, v72
	v_fmac_f32_e32 v0, 0x3f6eb680, v44
	v_add_f32_e32 v46, v38, v16
	v_sub_f32_e32 v77, v16, v38
	v_mov_b32_e32 v2, v54
	v_add_f32_e32 v0, v0, v8
	v_fma_f32 v1, v45, s12, -v52
	s_mov_b32 s13, 0x3f3d2fb0
	v_add_f32_e32 v47, v39, v17
	v_mul_f32_e32 v56, 0xbf2c7751, v77
	v_fmac_f32_e32 v2, 0x3f3d2fb0, v46
	v_sub_f32_e32 v78, v19, v37
	v_add_f32_e32 v1, v1, v9
	v_add_f32_e32 v0, v2, v0
	v_fma_f32 v2, v47, s13, -v56
	v_mul_f32_e32 v59, 0xbf65296c, v78
	v_add_f32_e32 v1, v2, v1
	v_add_f32_e32 v48, v36, v18
	v_sub_f32_e32 v83, v18, v36
	v_mov_b32_e32 v2, v59
	s_mov_b32 s14, 0x3ee437d1
	v_add_f32_e32 v49, v37, v19
	v_mul_f32_e32 v60, 0xbf65296c, v83
	v_fmac_f32_e32 v2, 0x3ee437d1, v48
	v_sub_f32_e32 v85, v25, v35
	v_add_f32_e32 v0, v2, v0
	v_fma_f32 v2, v49, s14, -v60
	v_mul_f32_e32 v63, 0xbf7ee86f, v85
	v_add_f32_e32 v1, v2, v1
	v_add_f32_e32 v51, v34, v24
	v_sub_f32_e32 v87, v24, v34
	v_mov_b32_e32 v2, v63
	s_mov_b32 s15, 0x3dbcf732
	v_add_f32_e32 v53, v35, v25
	v_mul_f32_e32 v64, 0xbf7ee86f, v87
	v_fmac_f32_e32 v2, 0x3dbcf732, v51
	v_sub_f32_e32 v89, v27, v33
	;; [unrolled: 12-line block ×5, first 2 shown]
	v_add_f32_e32 v0, v2, v0
	v_fma_f32 v2, v65, s19, -v76
	v_mul_f32_e32 v79, 0xbe3c28d5, v119
	v_add_f32_e32 v1, v2, v1
	v_add_f32_e32 v66, v14, v12
	v_mov_b32_e32 v2, v79
	v_sub_f32_e32 v128, v12, v14
	s_mov_b32 s17, 0xbf7ba420
	v_fmac_f32_e32 v2, 0xbf7ba420, v66
	v_add_f32_e32 v70, v15, v13
	v_mul_f32_e32 v84, 0xbe3c28d5, v128
	v_add_f32_e32 v81, v2, v0
	v_fma_f32 v0, v70, s17, -v84
	v_mul_f32_e32 v86, 0xbf2c7751, v69
	v_add_f32_e32 v82, v0, v1
	v_mov_b32_e32 v0, v86
	v_mul_f32_e32 v88, 0xbf7ee86f, v74
	v_fmac_f32_e32 v0, 0x3f3d2fb0, v44
	v_mov_b32_e32 v1, v88
	v_add_f32_e32 v0, v0, v8
	v_fmac_f32_e32 v1, 0x3dbcf732, v46
	v_mul_f32_e32 v93, 0xbf2c7751, v72
	v_add_f32_e32 v0, v1, v0
	v_fma_f32 v1, v45, s13, -v93
	v_mul_f32_e32 v94, 0xbf7ee86f, v77
	v_add_f32_e32 v1, v1, v9
	v_fma_f32 v2, v47, s15, -v94
	v_mul_f32_e32 v90, 0xbf4c4adb, v78
	v_add_f32_e32 v1, v2, v1
	v_mov_b32_e32 v2, v90
	v_fmac_f32_e32 v2, 0xbf1a4643, v48
	v_mul_f32_e32 v96, 0xbf4c4adb, v83
	v_add_f32_e32 v0, v2, v0
	v_fma_f32 v2, v49, s18, -v96
	v_mul_f32_e32 v91, 0xbe3c28d5, v85
	v_add_f32_e32 v1, v2, v1
	v_mov_b32_e32 v2, v91
	v_fmac_f32_e32 v2, 0xbf7ba420, v51
	v_mul_f32_e32 v98, 0xbe3c28d5, v87
	v_add_f32_e32 v0, v2, v0
	v_fma_f32 v2, v53, s17, -v98
	v_mul_f32_e32 v92, 0x3f06c442, v89
	v_add_f32_e32 v1, v2, v1
	v_mov_b32_e32 v2, v92
	v_fmac_f32_e32 v2, 0xbf59a7d5, v55
	v_mul_f32_e32 v101, 0x3f06c442, v99
	v_add_f32_e32 v0, v2, v0
	v_fma_f32 v2, v57, s19, -v101
	v_mul_f32_e32 v95, 0x3f763a35, v102
	v_add_f32_e32 v1, v2, v1
	v_mov_b32_e32 v2, v95
	v_fmac_f32_e32 v2, 0xbe8c1d8e, v58
	v_mul_f32_e32 v103, 0x3f763a35, v106
	v_add_f32_e32 v0, v2, v0
	v_fma_f32 v2, v61, s16, -v103
	v_mul_f32_e32 v97, 0x3f65296c, v107
	v_add_f32_e32 v1, v2, v1
	v_mov_b32_e32 v2, v97
	v_fmac_f32_e32 v2, 0x3ee437d1, v62
	v_mul_f32_e32 v104, 0x3f65296c, v118
	v_add_f32_e32 v0, v2, v0
	v_fma_f32 v2, v65, s14, -v104
	v_mul_f32_e32 v100, 0x3eb8f4ab, v119
	v_add_f32_e32 v1, v2, v1
	v_mov_b32_e32 v2, v100
	v_fmac_f32_e32 v2, 0x3f6eb680, v66
	v_mul_f32_e32 v105, 0x3eb8f4ab, v128
	v_mul_f32_e32 v108, 0xbf65296c, v69
	v_fma_f32 v3, v70, s12, -v105
	v_add_f32_e32 v2, v2, v0
	v_mov_b32_e32 v0, v108
	v_mul_f32_e32 v111, 0xbf4c4adb, v74
	v_add_f32_e32 v3, v3, v1
	v_fmac_f32_e32 v0, 0x3ee437d1, v44
	v_mov_b32_e32 v1, v111
	v_add_f32_e32 v0, v0, v8
	v_fmac_f32_e32 v1, 0xbf1a4643, v46
	v_mul_f32_e32 v112, 0x3e3c28d5, v78
	v_add_f32_e32 v0, v1, v0
	v_mov_b32_e32 v1, v112
	v_fmac_f32_e32 v1, 0xbf7ba420, v48
	v_mul_f32_e32 v113, 0x3f763a35, v85
	v_add_f32_e32 v0, v1, v0
	v_mov_b32_e32 v1, v113
	;; [unrolled: 4-line block ×6, first 2 shown]
	v_fmac_f32_e32 v1, 0xbf59a7d5, v66
	v_mul_f32_e32 v120, 0xbf65296c, v72
	v_add_f32_e32 v0, v1, v0
	v_fma_f32 v1, v45, s14, -v120
	v_mul_f32_e32 v121, 0xbf4c4adb, v77
	v_add_f32_e32 v1, v1, v9
	v_fma_f32 v4, v47, s18, -v121
	v_mul_f32_e32 v122, 0x3e3c28d5, v83
	v_add_f32_e32 v1, v4, v1
	v_fma_f32 v4, v49, s17, -v122
	v_mul_f32_e32 v123, 0x3f763a35, v87
	v_add_f32_e32 v1, v4, v1
	v_fma_f32 v4, v53, s16, -v123
	v_mul_f32_e32 v124, 0x3f2c7751, v99
	v_add_f32_e32 v1, v4, v1
	v_fma_f32 v4, v57, s13, -v124
	v_mul_f32_e32 v125, 0xbeb8f4ab, v106
	v_add_f32_e32 v1, v4, v1
	v_fma_f32 v4, v61, s12, -v125
	v_mul_f32_e32 v126, 0xbf7ee86f, v118
	v_add_f32_e32 v1, v4, v1
	v_fma_f32 v4, v65, s15, -v126
	v_mul_f32_e32 v127, 0xbf06c442, v128
	v_add_f32_e32 v1, v4, v1
	v_fma_f32 v4, v70, s19, -v127
	v_mul_f32_e32 v129, 0xbf7ee86f, v69
	v_add_f32_e32 v1, v4, v1
	v_mov_b32_e32 v4, v129
	v_mul_f32_e32 v130, 0xbe3c28d5, v74
	v_fmac_f32_e32 v4, 0x3dbcf732, v44
	v_mov_b32_e32 v5, v130
	v_add_f32_e32 v4, v4, v8
	v_fmac_f32_e32 v5, 0xbf7ba420, v46
	v_mul_f32_e32 v134, 0xbf7ee86f, v72
	v_add_f32_e32 v4, v5, v4
	v_fma_f32 v5, v45, s15, -v134
	v_mul_f32_e32 v135, 0xbe3c28d5, v77
	v_add_f32_e32 v5, v5, v9
	v_fma_f32 v6, v47, s17, -v135
	v_mul_f32_e32 v131, 0x3f763a35, v78
	v_add_f32_e32 v5, v6, v5
	v_mov_b32_e32 v6, v131
	v_fmac_f32_e32 v6, 0xbe8c1d8e, v48
	v_mul_f32_e32 v137, 0x3f763a35, v83
	v_add_f32_e32 v4, v6, v4
	v_fma_f32 v6, v49, s16, -v137
	v_mul_f32_e32 v132, 0x3eb8f4ab, v85
	v_add_f32_e32 v5, v6, v5
	v_mov_b32_e32 v6, v132
	v_fmac_f32_e32 v6, 0x3f6eb680, v51
	;; [unrolled: 7-line block ×6, first 2 shown]
	v_mul_f32_e32 v144, 0x3f2c7751, v128
	v_mul_f32_e32 v145, 0xbf763a35, v69
	v_fma_f32 v7, v70, s13, -v144
	v_add_f32_e32 v6, v6, v4
	v_mov_b32_e32 v4, v145
	v_mul_f32_e32 v146, 0x3f06c442, v74
	v_add_f32_e32 v7, v7, v5
	v_fmac_f32_e32 v4, 0xbe8c1d8e, v44
	v_mov_b32_e32 v5, v146
	v_add_f32_e32 v4, v4, v8
	v_fmac_f32_e32 v5, 0xbf59a7d5, v46
	v_mul_f32_e32 v147, 0x3f2c7751, v78
	v_add_f32_e32 v4, v5, v4
	v_mov_b32_e32 v5, v147
	v_fmac_f32_e32 v5, 0x3f3d2fb0, v48
	v_mul_f32_e32 v148, 0xbf65296c, v85
	v_add_f32_e32 v4, v5, v4
	v_mov_b32_e32 v5, v148
	;; [unrolled: 4-line block ×6, first 2 shown]
	v_fmac_f32_e32 v5, 0xbf1a4643, v66
	v_mul_f32_e32 v159, 0xbf763a35, v72
	v_add_f32_e32 v4, v5, v4
	v_fma_f32 v5, v45, s16, -v159
	v_mul_f32_e32 v160, 0x3f06c442, v77
	v_add_f32_e32 v5, v5, v9
	v_fma_f32 v42, v47, s19, -v160
	;; [unrolled: 3-line block ×8, first 2 shown]
	v_add_f32_e32 v5, v42, v5
	s_barrier
	s_and_saveexec_b64 s[4:5], s[0:1]
	s_cbranch_execz .LBB0_7
; %bb.6:
	v_mul_f32_e32 v163, 0xbf59a7d5, v45
	v_mov_b32_e32 v42, v163
	v_mul_f32_e32 v164, 0x3ee437d1, v47
	v_fmac_f32_e32 v42, 0x3f06c442, v72
	v_mov_b32_e32 v43, v164
	v_add_f32_e32 v42, v42, v9
	v_fmac_f32_e32 v43, 0xbf65296c, v77
	v_mul_f32_e32 v165, 0x3dbcf732, v49
	v_add_f32_e32 v42, v43, v42
	v_mov_b32_e32 v43, v165
	v_fmac_f32_e32 v43, 0x3f7ee86f, v83
	v_mul_f32_e32 v166, 0xbf1a4643, v53
	v_add_f32_e32 v42, v43, v42
	v_mov_b32_e32 v43, v166
	;; [unrolled: 4-line block ×7, first 2 shown]
	v_mul_f32_e32 v229, 0x3f65296c, v74
	v_fmac_f32_e32 v42, 0xbf59a7d5, v44
	v_mov_b32_e32 v161, v229
	v_add_f32_e32 v42, v42, v8
	v_fmac_f32_e32 v161, 0x3ee437d1, v46
	v_mul_f32_e32 v230, 0xbf7ee86f, v78
	v_add_f32_e32 v42, v161, v42
	v_mov_b32_e32 v161, v230
	v_fmac_f32_e32 v161, 0x3dbcf732, v48
	v_mul_f32_e32 v231, 0x3f4c4adb, v85
	v_add_f32_e32 v42, v161, v42
	v_mov_b32_e32 v161, v231
	;; [unrolled: 4-line block ×5, first 2 shown]
	v_fmac_f32_e32 v163, 0xbf06c442, v72
	v_fmac_f32_e32 v161, 0x3f3d2fb0, v62
	v_mul_f32_e32 v235, 0xbf763a35, v119
	v_add_f32_e32 v163, v163, v9
	v_fmac_f32_e32 v164, 0x3f65296c, v77
	v_add_f32_e32 v42, v161, v42
	v_mov_b32_e32 v161, v235
	v_add_f32_e32 v163, v164, v163
	v_fmac_f32_e32 v165, 0xbf7ee86f, v83
	v_fmac_f32_e32 v161, 0xbe8c1d8e, v66
	v_mul_f32_e32 v236, 0xbe3c28d5, v72
	v_add_f32_e32 v163, v165, v163
	v_fmac_f32_e32 v166, 0x3f4c4adb, v87
	v_fma_f32 v164, v44, s19, -v228
	v_add_f32_e32 v42, v161, v42
	v_mov_b32_e32 v161, v236
	v_mul_f32_e32 v237, 0x3eb8f4ab, v77
	v_add_f32_e32 v163, v166, v163
	v_fmac_f32_e32 v224, 0xbeb8f4ab, v99
	v_add_f32_e32 v164, v164, v8
	v_fma_f32 v165, v46, s14, -v229
	v_fmac_f32_e32 v161, 0xbf7ba420, v45
	v_mov_b32_e32 v162, v237
	v_add_f32_e32 v163, v224, v163
	v_fmac_f32_e32 v225, 0xbe3c28d5, v106
	v_add_f32_e32 v164, v165, v164
	v_fma_f32 v165, v48, s15, -v230
	v_add_f32_e32 v161, v161, v9
	v_fmac_f32_e32 v162, 0x3f6eb680, v47
	v_mul_f32_e32 v238, 0xbf06c442, v83
	v_add_f32_e32 v163, v225, v163
	v_fmac_f32_e32 v226, 0x3f2c7751, v118
	v_add_f32_e32 v164, v165, v164
	v_fma_f32 v165, v51, s18, -v231
	v_add_f32_e32 v161, v162, v161
	v_mov_b32_e32 v162, v238
	v_add_f32_e32 v163, v226, v163
	v_add_f32_e32 v164, v165, v164
	v_fma_f32 v165, v55, s12, -v232
	v_fmac_f32_e32 v227, 0xbf763a35, v128
	v_fmac_f32_e32 v162, 0xbf59a7d5, v49
	v_mul_f32_e32 v239, 0x3f2c7751, v87
	v_add_f32_e32 v165, v165, v164
	v_add_f32_e32 v164, v227, v163
	v_fma_f32 v163, v58, s17, -v233
	v_add_f32_e32 v161, v162, v161
	v_mov_b32_e32 v162, v239
	v_add_f32_e32 v163, v163, v165
	v_fma_f32 v165, v62, s13, -v234
	v_fmac_f32_e32 v162, 0x3f3d2fb0, v53
	v_mul_f32_e32 v240, 0xbf4c4adb, v99
	v_add_f32_e32 v163, v165, v163
	v_fma_f32 v165, v66, s16, -v235
	v_mul_f32_e32 v72, 0xbf4c4adb, v72
	v_add_f32_e32 v161, v162, v161
	v_mov_b32_e32 v162, v240
	v_add_f32_e32 v163, v165, v163
	v_mov_b32_e32 v165, v72
	v_mul_f32_e32 v227, 0x3f763a35, v77
	v_fmac_f32_e32 v162, 0xbf1a4643, v57
	v_mul_f32_e32 v241, 0x3f65296c, v106
	v_fmac_f32_e32 v165, 0xbf1a4643, v45
	v_mov_b32_e32 v77, v227
	v_add_f32_e32 v161, v162, v161
	v_mov_b32_e32 v162, v241
	v_add_f32_e32 v165, v165, v9
	v_fmac_f32_e32 v77, 0xbe8c1d8e, v47
	v_mul_f32_e32 v83, 0xbeb8f4ab, v83
	v_fmac_f32_e32 v162, 0x3ee437d1, v61
	v_mul_f32_e32 v242, 0xbf763a35, v118
	v_add_f32_e32 v77, v77, v165
	v_mov_b32_e32 v165, v83
	v_mul_f32_e32 v232, 0xbf06c442, v87
	v_add_f32_e32 v161, v162, v161
	v_mov_b32_e32 v162, v242
	v_fmac_f32_e32 v165, 0x3f6eb680, v49
	v_mov_b32_e32 v87, v232
	v_fmac_f32_e32 v162, 0xbe8c1d8e, v65
	v_mul_f32_e32 v243, 0x3f7ee86f, v128
	v_add_f32_e32 v77, v165, v77
	v_fmac_f32_e32 v87, 0xbf59a7d5, v53
	v_mul_f32_e32 v99, 0x3f7ee86f, v99
	v_add_f32_e32 v161, v162, v161
	v_mov_b32_e32 v162, v243
	v_add_f32_e32 v77, v87, v77
	v_mov_b32_e32 v87, v99
	v_fmac_f32_e32 v162, 0x3dbcf732, v70
	v_mul_f32_e32 v244, 0xbe3c28d5, v69
	v_fmac_f32_e32 v87, 0x3dbcf732, v57
	v_mul_f32_e32 v233, 0xbf2c7751, v106
	v_add_f32_e32 v162, v162, v161
	v_fma_f32 v161, v44, s17, -v244
	v_mul_f32_e32 v245, 0x3eb8f4ab, v74
	v_add_f32_e32 v77, v87, v77
	v_mov_b32_e32 v87, v233
	v_add_f32_e32 v161, v161, v8
	v_fma_f32 v246, v46, s12, -v245
	v_fmac_f32_e32 v87, 0x3f3d2fb0, v61
	v_mul_f32_e32 v234, 0xbe3c28d5, v118
	v_add_f32_e32 v161, v246, v161
	v_mul_f32_e32 v246, 0xbf06c442, v78
	v_add_f32_e32 v77, v87, v77
	v_mov_b32_e32 v87, v234
	v_fma_f32 v247, v48, s19, -v246
	v_fmac_f32_e32 v87, 0xbf7ba420, v65
	v_mul_f32_e32 v128, 0x3f65296c, v128
	v_add_f32_e32 v161, v247, v161
	v_mul_f32_e32 v247, 0x3f2c7751, v85
	v_add_f32_e32 v77, v87, v77
	v_mov_b32_e32 v87, v128
	v_fma_f32 v248, v51, s13, -v247
	v_fmac_f32_e32 v87, 0x3ee437d1, v70
	v_mul_f32_e32 v69, 0xbf4c4adb, v69
	v_add_f32_e32 v161, v248, v161
	v_mul_f32_e32 v248, 0xbf4c4adb, v89
	v_add_f32_e32 v166, v87, v77
	v_fma_f32 v77, v44, s18, -v69
	v_mul_f32_e32 v74, 0x3f763a35, v74
	v_fma_f32 v249, v55, s18, -v248
	v_add_f32_e32 v77, v77, v8
	v_fma_f32 v87, v46, s16, -v74
	v_mul_f32_e32 v235, 0xbeb8f4ab, v78
	v_add_f32_e32 v161, v249, v161
	v_mul_f32_e32 v249, 0x3f65296c, v102
	v_add_f32_e32 v77, v87, v77
	v_fma_f32 v78, v48, s12, -v235
	v_mul_f32_e32 v85, 0xbf06c442, v85
	v_fma_f32 v250, v58, s14, -v249
	v_add_f32_e32 v77, v78, v77
	v_fma_f32 v78, v51, s19, -v85
	;; [unrolled: 9-line block ×3, first 2 shown]
	v_mul_f32_e32 v50, 0xbe3c28d5, v107
	v_add_f32_e32 v161, v251, v161
	v_mul_f32_e32 v251, 0x3f7ee86f, v119
	v_add_f32_e32 v77, v78, v77
	v_fma_f32 v78, v62, s17, -v50
	v_mul_f32_e32 v119, 0x3f65296c, v119
	v_mul_f32_e32 v176, 0xbe8c1d8e, v45
	v_add_f32_e32 v77, v78, v77
	v_fma_f32 v78, v66, s14, -v119
	v_mul_f32_e32 v186, 0xbf59a7d5, v47
	v_add_f32_e32 v165, v78, v77
	v_add_f32_e32 v78, v159, v176
	v_mul_f32_e32 v196, 0x3f3d2fb0, v49
	v_add_f32_e32 v87, v160, v186
	v_add_f32_e32 v78, v78, v9
	;; [unrolled: 3-line block ×8, first 2 shown]
	v_mul_f32_e32 v185, 0xbf59a7d5, v46
	v_add_f32_e32 v78, v78, v77
	v_sub_f32_e32 v77, v175, v145
	v_mul_f32_e32 v195, 0x3f3d2fb0, v48
	v_add_f32_e32 v77, v77, v8
	v_sub_f32_e32 v107, v185, v146
	;; [unrolled: 3-line block ×3, first 2 shown]
	v_add_f32_e32 v10, v10, v8
	v_mul_f32_e32 v215, 0xbf7ba420, v55
	v_add_f32_e32 v77, v107, v77
	v_sub_f32_e32 v107, v205, v148
	v_add_f32_e32 v11, v11, v9
	v_add_f32_e32 v10, v16, v10
	v_mul_f32_e32 v187, 0x3f6eb680, v45
	v_mul_f32_e32 v253, 0x3dbcf732, v58
	v_add_f32_e32 v77, v107, v77
	v_sub_f32_e32 v107, v215, v149
	v_add_f32_e32 v11, v17, v11
	v_add_f32_e32 v10, v18, v10
	v_mul_f32_e32 v179, 0x3f3d2fb0, v47
	v_mul_f32_e32 v231, 0x3f6eb680, v62
	v_add_f32_e32 v77, v107, v77
	v_sub_f32_e32 v107, v253, v150
	v_add_f32_e32 v52, v52, v187
	v_add_f32_e32 v11, v19, v11
	;; [unrolled: 1-line block ×3, first 2 shown]
	v_mul_f32_e32 v188, 0x3ee437d1, v49
	v_mul_f32_e32 v154, 0xbf1a4643, v66
	v_add_f32_e32 v77, v107, v77
	v_sub_f32_e32 v107, v231, v151
	v_add_f32_e32 v52, v52, v9
	v_add_f32_e32 v56, v56, v179
	;; [unrolled: 1-line block ×4, first 2 shown]
	v_mul_f32_e32 v174, 0x3dbcf732, v45
	v_mul_f32_e32 v198, 0x3dbcf732, v53
	v_add_f32_e32 v77, v107, v77
	v_sub_f32_e32 v107, v154, v152
	v_add_f32_e32 v52, v56, v52
	v_add_f32_e32 v56, v60, v188
	;; [unrolled: 1-line block ×4, first 2 shown]
	v_mul_f32_e32 v184, 0xbf7ba420, v47
	v_mul_f32_e32 v208, 0xbe8c1d8e, v57
	v_add_f32_e32 v77, v107, v77
	v_add_f32_e32 v107, v134, v174
	v_add_f32_e32 v52, v56, v52
	v_add_f32_e32 v56, v64, v198
	v_add_f32_e32 v11, v29, v11
	v_add_f32_e32 v10, v30, v10
	v_mul_f32_e32 v194, 0xbe8c1d8e, v49
	v_mul_f32_e32 v218, 0xbf1a4643, v61
	v_add_f32_e32 v107, v107, v9
	v_add_f32_e32 v134, v135, v184
	;; [unrolled: 1-line block ×6, first 2 shown]
	v_fma_f32 v12, v45, s17, -v236
	v_mul_f32_e32 v204, 0x3f6eb680, v53
	v_mul_f32_e32 v80, 0xbf59a7d5, v65
	v_add_f32_e32 v107, v134, v107
	v_add_f32_e32 v134, v137, v194
	v_add_f32_e32 v52, v56, v52
	v_add_f32_e32 v56, v73, v218
	v_add_f32_e32 v11, v13, v11
	v_add_f32_e32 v12, v12, v9
	v_fma_f32 v13, v47, s12, -v237
	v_mul_f32_e32 v214, 0x3ee437d1, v57
	v_fma_f32 v252, v66, s15, -v251
	v_mul_f32_e32 v159, 0xbf7ba420, v70
	v_add_f32_e32 v107, v134, v107
	v_add_f32_e32 v134, v139, v204
	;; [unrolled: 1-line block ×5, first 2 shown]
	v_fma_f32 v13, v49, s19, -v238
	v_add_f32_e32 v161, v252, v161
	v_mul_f32_e32 v252, 0xbf59a7d5, v61
	v_add_f32_e32 v107, v134, v107
	v_add_f32_e32 v134, v141, v214
	;; [unrolled: 1-line block ×5, first 2 shown]
	v_fma_f32 v13, v53, s13, -v239
	v_mul_f32_e32 v170, 0x3f3d2fb0, v45
	v_mul_f32_e32 v172, 0x3ee437d1, v45
	;; [unrolled: 1-line block ×3, first 2 shown]
	v_add_f32_e32 v107, v134, v107
	v_add_f32_e32 v134, v142, v252
	v_add_f32_e32 v60, v56, v52
	v_mul_f32_e32 v52, 0x3f6eb680, v44
	v_add_f32_e32 v12, v13, v12
	v_fma_f32 v13, v57, s18, -v240
	v_mul_f32_e32 v106, 0x3f3d2fb0, v70
	v_add_f32_e32 v107, v134, v107
	v_add_f32_e32 v134, v143, v230
	;; [unrolled: 1-line block ×4, first 2 shown]
	v_sub_f32_e32 v52, v52, v177
	v_mul_f32_e32 v56, 0x3f3d2fb0, v46
	v_add_f32_e32 v10, v14, v10
	v_add_f32_e32 v12, v13, v12
	v_fma_f32 v13, v61, s14, -v241
	v_fma_f32 v14, v45, s18, -v72
	v_mul_f32_e32 v169, 0x3f3d2fb0, v44
	v_mul_f32_e32 v171, 0x3ee437d1, v44
	;; [unrolled: 1-line block ×3, first 2 shown]
	v_add_f32_e32 v107, v134, v107
	v_add_f32_e32 v106, v144, v106
	;; [unrolled: 1-line block ×5, first 2 shown]
	v_sub_f32_e32 v54, v56, v54
	v_add_f32_e32 v12, v13, v12
	v_fma_f32 v13, v65, s16, -v242
	v_add_f32_e32 v9, v14, v9
	v_fma_f32 v14, v47, s16, -v227
	v_mul_f32_e32 v168, 0x3dbcf732, v46
	v_mul_f32_e32 v180, 0x3dbcf732, v47
	;; [unrolled: 1-line block ×5, first 2 shown]
	v_add_f32_e32 v107, v106, v107
	v_sub_f32_e32 v106, v173, v129
	v_sub_f32_e32 v108, v171, v108
	;; [unrolled: 1-line block ×3, first 2 shown]
	v_add_f32_e32 v52, v54, v52
	v_mul_f32_e32 v54, 0x3ee437d1, v48
	v_add_f32_e32 v11, v15, v11
	v_add_f32_e32 v12, v13, v12
	v_fma_f32 v13, v70, s15, -v243
	v_fmac_f32_e32 v244, 0xbf7ba420, v44
	v_add_f32_e32 v9, v14, v9
	v_fma_f32 v14, v49, s12, -v83
	v_fmac_f32_e32 v69, 0xbf1a4643, v44
	v_mul_f32_e32 v189, 0xbf1a4643, v48
	v_mul_f32_e32 v190, 0xbf1a4643, v49
	;; [unrolled: 1-line block ×6, first 2 shown]
	v_add_f32_e32 v106, v106, v8
	v_sub_f32_e32 v129, v183, v130
	v_add_f32_e32 v121, v121, v182
	v_add_f32_e32 v108, v108, v8
	v_sub_f32_e32 v111, v181, v111
	v_add_f32_e32 v94, v94, v180
	v_add_f32_e32 v86, v86, v8
	v_sub_f32_e32 v88, v168, v88
	v_sub_f32_e32 v54, v54, v59
	v_add_f32_e32 v11, v21, v11
	v_add_f32_e32 v10, v20, v10
	;; [unrolled: 1-line block ×4, first 2 shown]
	v_fmac_f32_e32 v245, 0x3f6eb680, v46
	v_add_f32_e32 v9, v14, v9
	v_fma_f32 v14, v53, s19, -v232
	v_add_f32_e32 v8, v69, v8
	v_fmac_f32_e32 v74, 0xbe8c1d8e, v46
	v_mul_f32_e32 v199, 0xbf7ba420, v51
	v_mul_f32_e32 v200, 0xbf7ba420, v53
	v_mul_f32_e32 v201, 0xbe8c1d8e, v51
	v_mul_f32_e32 v202, 0xbe8c1d8e, v53
	v_mul_f32_e32 v203, 0x3f6eb680, v51
	v_mul_f32_e32 v207, 0xbe8c1d8e, v55
	v_add_f32_e32 v106, v129, v106
	v_sub_f32_e32 v129, v193, v131
	v_add_f32_e32 v120, v121, v120
	v_add_f32_e32 v121, v122, v192
	v_add_f32_e32 v108, v111, v108
	v_sub_f32_e32 v111, v191, v112
	v_add_f32_e32 v93, v94, v93
	v_add_f32_e32 v94, v96, v190
	v_add_f32_e32 v86, v88, v86
	v_sub_f32_e32 v88, v189, v90
	v_add_f32_e32 v52, v54, v52
	v_sub_f32_e32 v54, v197, v63
	v_add_f32_e32 v11, v23, v11
	v_add_f32_e32 v10, v22, v10
	v_add_f32_e32 v12, v245, v12
	v_fmac_f32_e32 v246, 0xbf59a7d5, v48
	v_add_f32_e32 v9, v14, v9
	v_fma_f32 v14, v57, s15, -v99
	v_add_f32_e32 v8, v74, v8
	v_fmac_f32_e32 v235, 0x3f6eb680, v48
	v_mul_f32_e32 v209, 0xbf59a7d5, v55
	v_mul_f32_e32 v210, 0xbf59a7d5, v57
	v_mul_f32_e32 v211, 0x3f3d2fb0, v55
	v_mul_f32_e32 v212, 0x3f3d2fb0, v57
	v_mul_f32_e32 v213, 0x3ee437d1, v55
	v_mul_f32_e32 v217, 0xbf1a4643, v58
	v_add_f32_e32 v106, v129, v106
	v_sub_f32_e32 v129, v203, v132
	v_add_f32_e32 v120, v121, v120
	v_add_f32_e32 v121, v123, v202
	v_add_f32_e32 v108, v111, v108
	v_sub_f32_e32 v111, v201, v113
	v_add_f32_e32 v93, v94, v93
	v_add_f32_e32 v94, v98, v200
	v_add_f32_e32 v86, v88, v86
	v_sub_f32_e32 v88, v199, v91
	v_add_f32_e32 v52, v54, v52
	v_sub_f32_e32 v54, v207, v67
	v_add_f32_e32 v11, v33, v11
	v_add_f32_e32 v10, v32, v10
	v_add_f32_e32 v12, v246, v12
	v_fmac_f32_e32 v247, 0x3f3d2fb0, v51
	v_add_f32_e32 v9, v14, v9
	v_fma_f32 v14, v61, s13, -v233
	v_add_f32_e32 v8, v235, v8
	v_fmac_f32_e32 v85, 0xbf59a7d5, v51
	v_mul_f32_e32 v219, 0xbe8c1d8e, v58
	v_mul_f32_e32 v220, 0xbe8c1d8e, v61
	v_mul_f32_e32 v221, 0x3f6eb680, v58
	v_mul_f32_e32 v222, 0x3f6eb680, v61
	v_mul_f32_e32 v223, 0xbf59a7d5, v58
	v_mul_f32_e32 v255, 0xbf59a7d5, v62
	v_add_f32_e32 v106, v129, v106
	v_sub_f32_e32 v129, v213, v133
	v_add_f32_e32 v120, v121, v120
	v_add_f32_e32 v121, v124, v212
	v_add_f32_e32 v108, v111, v108
	v_sub_f32_e32 v111, v211, v114
	v_add_f32_e32 v93, v94, v93
	v_add_f32_e32 v94, v101, v210
	v_add_f32_e32 v86, v88, v86
	v_sub_f32_e32 v88, v209, v92
	v_add_f32_e32 v52, v54, v52
	v_sub_f32_e32 v54, v217, v71
	v_add_f32_e32 v11, v35, v11
	v_add_f32_e32 v10, v34, v10
	v_add_f32_e32 v12, v247, v12
	v_fmac_f32_e32 v248, 0xbf1a4643, v55
	v_add_f32_e32 v9, v14, v9
	v_fma_f32 v14, v65, s17, -v234
	v_add_f32_e32 v8, v85, v8
	v_fmac_f32_e32 v89, 0x3dbcf732, v55
	v_mul_f32_e32 v224, 0x3ee437d1, v62
	v_mul_f32_e32 v225, 0x3ee437d1, v65
	v_mul_f32_e32 v226, 0x3dbcf732, v62
	v_mul_f32_e32 v228, 0x3dbcf732, v65
	v_mul_f32_e32 v229, 0xbf1a4643, v62
	v_mul_f32_e32 v167, 0xbf7ba420, v66
	v_add_f32_e32 v106, v129, v106
	v_sub_f32_e32 v129, v223, v136
	v_add_f32_e32 v120, v121, v120
	v_add_f32_e32 v121, v125, v222
	v_add_f32_e32 v108, v111, v108
	v_sub_f32_e32 v111, v221, v115
	v_add_f32_e32 v93, v94, v93
	v_add_f32_e32 v94, v103, v220
	v_add_f32_e32 v86, v88, v86
	v_sub_f32_e32 v88, v219, v95
	v_add_f32_e32 v52, v54, v52
	v_sub_f32_e32 v54, v255, v75
	v_add_f32_e32 v11, v37, v11
	v_add_f32_e32 v10, v36, v10
	v_add_f32_e32 v12, v248, v12
	v_fmac_f32_e32 v249, 0x3ee437d1, v58
	v_add_f32_e32 v9, v14, v9
	v_fma_f32 v14, v70, s14, -v128
	v_add_f32_e32 v8, v89, v8
	v_fmac_f32_e32 v102, 0x3f3d2fb0, v58
	v_mul_f32_e32 v160, 0x3f6eb680, v66
	v_mul_f32_e32 v87, 0x3f6eb680, v70
	;; [unrolled: 1-line block ×5, first 2 shown]
	v_add_f32_e32 v106, v129, v106
	v_sub_f32_e32 v129, v229, v138
	v_add_f32_e32 v120, v121, v120
	v_add_f32_e32 v121, v126, v228
	;; [unrolled: 1-line block ×3, first 2 shown]
	v_sub_f32_e32 v111, v226, v116
	v_add_f32_e32 v93, v94, v93
	v_add_f32_e32 v94, v104, v225
	;; [unrolled: 1-line block ×3, first 2 shown]
	v_sub_f32_e32 v88, v224, v97
	v_add_f32_e32 v52, v54, v52
	v_sub_f32_e32 v54, v167, v79
	v_add_f32_e32 v11, v39, v11
	v_add_f32_e32 v10, v38, v10
	v_add_f32_e32 v12, v249, v12
	v_fmac_f32_e32 v250, 0xbe8c1d8e, v62
	v_add_f32_e32 v9, v14, v9
	v_add_f32_e32 v8, v102, v8
	v_fmac_f32_e32 v50, 0xbf7ba420, v62
	v_mul_lo_u16_e32 v14, 17, v110
	v_add_f32_e32 v106, v129, v106
	v_sub_f32_e32 v129, v156, v140
	v_add_f32_e32 v120, v121, v120
	v_add_f32_e32 v118, v127, v118
	v_add_f32_e32 v108, v111, v108
	v_sub_f32_e32 v111, v158, v117
	v_add_f32_e32 v93, v94, v93
	v_add_f32_e32 v87, v105, v87
	v_add_f32_e32 v86, v88, v86
	v_sub_f32_e32 v88, v160, v100
	v_add_f32_e32 v59, v54, v52
	v_add_f32_e32 v11, v41, v11
	v_add_f32_e32 v10, v40, v10
	v_add_f32_e32 v12, v250, v12
	v_fmac_f32_e32 v251, 0x3dbcf732, v66
	v_add_f32_e32 v8, v50, v8
	v_fmac_f32_e32 v119, 0x3ee437d1, v66
	v_lshlrev_b32_e32 v14, 3, v14
	v_add_f32_e32 v106, v129, v106
	v_add_f32_e32 v118, v118, v120
	;; [unrolled: 1-line block ×7, first 2 shown]
	ds_write2_b64 v14, v[10:11], v[59:60] offset1:1
	ds_write2_b64 v14, v[86:87], v[117:118] offset0:2 offset1:3
	ds_write2_b64 v14, v[106:107], v[77:78] offset0:4 offset1:5
	;; [unrolled: 1-line block ×7, first 2 shown]
	ds_write_b64 v14, v[81:82] offset:128
.LBB0_7:
	s_or_b64 exec, exec, s[4:5]
	s_movk_i32 s12, 0xf1
	v_mul_lo_u16_sdwa v8, v110, s12 dst_sel:DWORD dst_unused:UNUSED_PAD src0_sel:BYTE_0 src1_sel:DWORD
	v_lshrrev_b16_e32 v51, 12, v8
	v_mul_lo_u16_e32 v8, 17, v51
	v_add_co_u32_e32 v50, vcc, 0x99, v110
	v_sub_u16_e32 v8, v110, v8
	s_mov_b32 s12, 0xf0f1
	v_and_b32_e32 v52, 0xff, v8
	v_mul_u32_u24_sdwa v8, v50, s12 dst_sel:DWORD dst_unused:UNUSED_PAD src0_sel:WORD_0 src1_sel:DWORD
	v_lshrrev_b32_e32 v53, 20, v8
	v_mul_lo_u16_e32 v8, 17, v53
	v_sub_u16_e32 v54, v50, v8
	v_lshlrev_b32_e32 v16, 4, v52
	v_lshlrev_b16_e32 v8, 1, v54
	s_load_dwordx4 s[4:7], s[6:7], 0x0
	s_waitcnt lgkmcnt(0)
	s_barrier
	v_lshlrev_b32_e32 v17, 3, v8
	global_load_dwordx4 v[12:15], v16, s[2:3]
	global_load_dwordx4 v[8:11], v17, s[2:3]
	v_add_u32_e32 v40, 0x132, v110
	v_mul_u32_u24_sdwa v16, v40, s12 dst_sel:DWORD dst_unused:UNUSED_PAD src0_sel:WORD_0 src1_sel:DWORD
	v_lshrrev_b32_e32 v55, 20, v16
	v_add_u32_e32 v41, 0x1cb, v110
	v_mul_lo_u16_e32 v16, 17, v55
	v_sub_u16_e32 v56, v40, v16
	v_mul_u32_u24_sdwa v17, v41, s12 dst_sel:DWORD dst_unused:UNUSED_PAD src0_sel:WORD_0 src1_sel:DWORD
	v_lshlrev_b16_e32 v16, 1, v56
	v_lshrrev_b32_e32 v57, 20, v17
	v_lshlrev_b32_e32 v16, 3, v16
	v_mul_lo_u16_e32 v17, 17, v57
	global_load_dwordx4 v[20:23], v16, s[2:3]
	v_sub_u16_e32 v58, v41, v17
	v_lshlrev_b16_e32 v16, 1, v58
	v_lshlrev_b32_e32 v16, 3, v16
	global_load_dwordx4 v[16:19], v16, s[2:3]
	v_mov_b32_e32 v24, 3
	v_lshlrev_b32_sdwa v112, v24, v110 dst_sel:DWORD dst_unused:UNUSED_PAD src0_sel:DWORD src1_sel:WORD_0
	v_add_u32_e32 v99, 0x1000, v112
	ds_read2_b64 v[24:27], v112 offset1:153
	v_add_u32_e32 v97, 0x2400, v112
	v_add_u32_e32 v101, 0x800, v112
	;; [unrolled: 1-line block ×4, first 2 shown]
	ds_read2_b64 v[28:31], v99 offset0:100 offset1:253
	ds_read2_b64 v[32:35], v97 offset0:72 offset1:225
	;; [unrolled: 1-line block ×5, first 2 shown]
	v_mul_u32_u24_e32 v51, 51, v51
	v_add_lshl_u32 v114, v51, v52, 3
	s_waitcnt vmcnt(0) lgkmcnt(0)
	s_barrier
	s_movk_i32 s12, 0xa1
	v_add_u32_e32 v75, 0x2fd, v110
	v_lshlrev_b32_e32 v111, 3, v110
	v_mul_f32_e32 v59, v29, v13
	v_mul_f32_e32 v61, v33, v15
	;; [unrolled: 1-line block ×4, first 2 shown]
	v_fma_f32 v59, v28, v12, -v59
	v_fma_f32 v32, v32, v14, -v61
	v_mul_f32_e32 v63, v31, v9
	v_fmac_f32_e32 v60, v29, v12
	v_add_f32_e32 v29, v59, v32
	v_mul_f32_e32 v64, v30, v9
	v_fmac_f32_e32 v62, v33, v14
	v_fma_f32 v61, v30, v8, -v63
	v_add_f32_e32 v28, v24, v59
	v_add_f32_e32 v30, v25, v60
	v_fma_f32 v24, -0.5, v29, v24
	v_fmac_f32_e32 v64, v31, v8
	v_sub_f32_e32 v31, v60, v62
	v_add_f32_e32 v29, v30, v62
	v_mov_b32_e32 v30, v24
	v_mul_f32_e32 v65, v35, v11
	v_fmac_f32_e32 v24, 0xbf5db3d7, v31
	v_fmac_f32_e32 v30, 0x3f5db3d7, v31
	v_add_f32_e32 v31, v60, v62
	v_fma_f32 v63, v34, v10, -v65
	v_fma_f32 v25, -0.5, v31, v25
	v_mul_f32_e32 v66, v34, v11
	v_add_f32_e32 v28, v28, v32
	v_sub_f32_e32 v32, v59, v32
	v_mov_b32_e32 v31, v25
	v_add_f32_e32 v33, v61, v63
	v_fmac_f32_e32 v66, v35, v10
	v_fmac_f32_e32 v31, 0xbf5db3d7, v32
	v_fmac_f32_e32 v25, 0x3f5db3d7, v32
	v_add_f32_e32 v32, v26, v61
	v_fma_f32 v26, -0.5, v33, v26
	v_mul_f32_e32 v67, v43, v21
	v_mul_f32_e32 v69, v47, v23
	v_sub_f32_e32 v33, v64, v66
	v_mov_b32_e32 v34, v26
	v_add_f32_e32 v35, v64, v66
	v_mul_f32_e32 v68, v42, v21
	v_mul_f32_e32 v70, v46, v23
	v_fma_f32 v65, v42, v20, -v67
	v_fma_f32 v46, v46, v22, -v69
	v_fmac_f32_e32 v34, 0x3f5db3d7, v33
	v_fmac_f32_e32 v26, 0xbf5db3d7, v33
	v_add_f32_e32 v33, v27, v64
	v_fmac_f32_e32 v27, -0.5, v35
	v_fmac_f32_e32 v68, v43, v20
	v_sub_f32_e32 v42, v61, v63
	v_mov_b32_e32 v35, v27
	v_add_f32_e32 v43, v65, v46
	v_mul_f32_e32 v71, v45, v17
	v_mul_f32_e32 v72, v44, v17
	v_fmac_f32_e32 v70, v47, v22
	v_fmac_f32_e32 v35, 0xbf5db3d7, v42
	;; [unrolled: 1-line block ×3, first 2 shown]
	v_add_f32_e32 v42, v36, v65
	v_fma_f32 v36, -0.5, v43, v36
	ds_write2_b64 v114, v[28:29], v[30:31] offset1:17
	ds_write_b64 v114, v[24:25] offset:272
	v_mad_legacy_u16 v24, v53, 51, v54
	v_mul_f32_e32 v73, v49, v19
	v_fma_f32 v67, v44, v16, -v71
	v_fmac_f32_e32 v72, v45, v16
	v_sub_f32_e32 v43, v68, v70
	v_mov_b32_e32 v44, v36
	v_add_f32_e32 v45, v68, v70
	v_lshlrev_b32_e32 v118, 3, v24
	v_mad_legacy_u16 v24, v55, 51, v56
	v_fma_f32 v69, v48, v18, -v73
	v_fmac_f32_e32 v44, 0x3f5db3d7, v43
	v_fmac_f32_e32 v36, 0xbf5db3d7, v43
	v_add_f32_e32 v43, v37, v68
	v_fma_f32 v37, -0.5, v45, v37
	v_lshlrev_b32_e32 v115, 3, v24
	v_mad_legacy_u16 v24, v57, 51, v58
	v_mul_f32_e32 v74, v48, v19
	v_add_f32_e32 v42, v42, v46
	v_sub_f32_e32 v46, v65, v46
	v_mov_b32_e32 v45, v37
	v_add_f32_e32 v47, v67, v69
	v_lshlrev_b32_e32 v116, 3, v24
	v_mul_lo_u16_sdwa v24, v110, s12 dst_sel:DWORD dst_unused:UNUSED_PAD src0_sel:BYTE_0 src1_sel:DWORD
	s_mov_b32 s12, 0xa0a1
	v_fmac_f32_e32 v74, v49, v18
	v_add_f32_e32 v33, v33, v66
	v_fmac_f32_e32 v45, 0xbf5db3d7, v46
	v_fmac_f32_e32 v37, 0x3f5db3d7, v46
	v_add_f32_e32 v46, v38, v67
	v_fma_f32 v38, -0.5, v47, v38
	v_lshrrev_b16_e32 v66, 13, v24
	v_mul_u32_u24_sdwa v28, v50, s12 dst_sel:DWORD dst_unused:UNUSED_PAD src0_sel:WORD_0 src1_sel:DWORD
	v_add_f32_e32 v32, v32, v63
	v_sub_f32_e32 v47, v72, v74
	v_mov_b32_e32 v48, v38
	v_add_f32_e32 v49, v72, v74
	v_mul_lo_u16_e32 v24, 51, v66
	v_lshrrev_b32_e32 v68, 21, v28
	v_fmac_f32_e32 v48, 0x3f5db3d7, v47
	v_fmac_f32_e32 v38, 0xbf5db3d7, v47
	v_add_f32_e32 v47, v39, v72
	v_fmac_f32_e32 v39, -0.5, v49
	ds_write2_b64 v118, v[32:33], v[34:35] offset1:17
	ds_write_b64 v118, v[26:27] offset:272
	v_sub_u16_e32 v24, v110, v24
	v_mul_lo_u16_e32 v28, 51, v68
	v_mul_u32_u24_sdwa v32, v40, s12 dst_sel:DWORD dst_unused:UNUSED_PAD src0_sel:WORD_0 src1_sel:DWORD
	v_add_f32_e32 v43, v43, v70
	v_add_f32_e32 v46, v46, v69
	v_sub_f32_e32 v59, v67, v69
	v_mov_b32_e32 v49, v39
	v_and_b32_e32 v67, 0xff, v24
	v_sub_u16_e32 v69, v50, v28
	v_lshrrev_b32_e32 v70, 21, v32
	v_add_f32_e32 v47, v47, v74
	v_fmac_f32_e32 v49, 0xbf5db3d7, v59
	ds_write2_b64 v115, v[42:43], v[44:45] offset1:17
	ds_write_b64 v115, v[36:37] offset:272
	v_lshlrev_b32_e32 v24, 4, v67
	v_lshlrev_b16_e32 v28, 4, v69
	v_mul_lo_u16_e32 v32, 51, v70
	v_mul_u32_u24_sdwa v36, v41, s12 dst_sel:DWORD dst_unused:UNUSED_PAD src0_sel:WORD_0 src1_sel:DWORD
	v_fmac_f32_e32 v39, 0x3f5db3d7, v59
	ds_write2_b64 v116, v[46:47], v[48:49] offset1:17
	ds_write_b64 v116, v[38:39] offset:272
	s_waitcnt lgkmcnt(0)
	s_barrier
	global_load_dwordx4 v[24:27], v24, s[2:3] offset:272
	v_mov_b32_e32 v37, s3
	v_add_co_u32_e32 v28, vcc, s2, v28
	v_sub_u16_e32 v71, v40, v32
	v_lshrrev_b32_e32 v72, 21, v36
	v_addc_co_u32_e32 v29, vcc, 0, v37, vcc
	global_load_dwordx4 v[28:31], v[28:29], off offset:272
	v_lshlrev_b16_e32 v32, 4, v71
	v_mul_lo_u16_e32 v36, 51, v72
	v_add_co_u32_e32 v32, vcc, s2, v32
	v_sub_u16_e32 v73, v41, v36
	v_addc_co_u32_e32 v33, vcc, 0, v37, vcc
	v_lshlrev_b16_e32 v36, 4, v73
	global_load_dwordx4 v[32:35], v[32:33], off offset:272
	v_add_co_u32_e32 v36, vcc, s2, v36
	v_addc_co_u32_e32 v37, vcc, 0, v37, vcc
	global_load_dwordx4 v[36:39], v[36:37], off offset:272
	ds_read2_b64 v[42:45], v112 offset1:153
	ds_read2_b64 v[46:49], v99 offset0:100 offset1:253
	ds_read2_b64 v[50:53], v97 offset0:72 offset1:225
	;; [unrolled: 1-line block ×5, first 2 shown]
	v_mul_u32_u24_e32 v66, 0x99, v66
	s_movk_i32 s12, 0x99
	v_add_lshl_u32 v121, v66, v67, 3
	s_waitcnt vmcnt(0) lgkmcnt(0)
	s_barrier
	v_add_u32_e32 v74, 0x264, v110
	v_mul_f32_e32 v76, v47, v25
	v_fma_f32 v76, v46, v24, -v76
	v_mul_f32_e32 v77, v46, v25
	v_mul_f32_e32 v46, v51, v27
	v_fma_f32 v78, v50, v26, -v46
	v_fmac_f32_e32 v77, v47, v24
	v_mul_f32_e32 v50, v50, v27
	v_add_f32_e32 v47, v76, v78
	v_mul_f32_e32 v46, v49, v29
	v_fma_f32 v79, v48, v28, -v46
	v_mul_f32_e32 v46, v53, v31
	v_fma_f32 v83, v52, v30, -v46
	v_fmac_f32_e32 v50, v51, v26
	v_mul_f32_e32 v80, v48, v29
	v_fmac_f32_e32 v80, v49, v28
	v_add_f32_e32 v49, v77, v50
	v_mul_f32_e32 v84, v52, v31
	v_mul_f32_e32 v46, v59, v33
	v_fma_f32 v85, v58, v32, -v46
	v_mul_f32_e32 v46, v63, v35
	v_fma_f32 v87, v62, v34, -v46
	v_add_f32_e32 v51, v79, v83
	v_mul_f32_e32 v46, v61, v37
	v_fma_f32 v88, v60, v36, -v46
	v_mul_f32_e32 v46, v65, v39
	v_fma_f32 v90, v64, v38, -v46
	v_add_f32_e32 v46, v42, v76
	v_fma_f32 v42, -0.5, v47, v42
	v_sub_f32_e32 v47, v77, v50
	v_mov_b32_e32 v48, v42
	v_fmac_f32_e32 v48, 0x3f5db3d7, v47
	v_fmac_f32_e32 v42, 0xbf5db3d7, v47
	v_add_f32_e32 v47, v43, v77
	v_fma_f32 v43, -0.5, v49, v43
	v_add_f32_e32 v47, v47, v50
	v_sub_f32_e32 v50, v76, v78
	v_mov_b32_e32 v49, v43
	v_add_f32_e32 v46, v46, v78
	v_fmac_f32_e32 v49, 0xbf5db3d7, v50
	v_fmac_f32_e32 v43, 0x3f5db3d7, v50
	ds_write2_b64 v121, v[46:47], v[48:49] offset1:51
	ds_write_b64 v121, v[42:43] offset:816
	v_mad_legacy_u16 v42, v68, s12, v69
	v_lshlrev_b32_e32 v122, 3, v42
	v_mad_legacy_u16 v42, v70, s12, v71
	v_fmac_f32_e32 v84, v53, v30
	v_add_f32_e32 v50, v44, v79
	v_fma_f32 v44, -0.5, v51, v44
	v_lshlrev_b32_e32 v123, 3, v42
	v_mad_legacy_u16 v42, v72, s12, v73
	s_movk_i32 s12, 0x358b
	v_sub_f32_e32 v51, v80, v84
	v_mov_b32_e32 v52, v44
	v_add_f32_e32 v53, v80, v84
	v_lshlrev_b32_e32 v124, 3, v42
	v_mul_u32_u24_sdwa v42, v40, s12 dst_sel:DWORD dst_unused:UNUSED_PAD src0_sel:WORD_0 src1_sel:DWORD
	v_mul_f32_e32 v86, v58, v33
	v_fmac_f32_e32 v52, 0x3f5db3d7, v51
	v_fmac_f32_e32 v44, 0xbf5db3d7, v51
	v_add_f32_e32 v51, v45, v80
	v_fmac_f32_e32 v45, -0.5, v53
	v_lshrrev_b32_e32 v42, 21, v42
	v_fmac_f32_e32 v86, v59, v32
	v_mul_f32_e32 v62, v62, v35
	v_sub_f32_e32 v58, v79, v83
	v_mov_b32_e32 v53, v45
	v_add_f32_e32 v59, v85, v87
	v_mul_lo_u16_e32 v42, 0x99, v42
	v_fmac_f32_e32 v62, v63, v34
	v_mul_f32_e32 v89, v60, v37
	v_fmac_f32_e32 v53, 0xbf5db3d7, v58
	v_fmac_f32_e32 v45, 0x3f5db3d7, v58
	v_add_f32_e32 v58, v54, v85
	v_fma_f32 v54, -0.5, v59, v54
	v_sub_u16_e32 v40, v40, v42
	v_fmac_f32_e32 v89, v61, v36
	v_sub_f32_e32 v59, v86, v62
	v_mov_b32_e32 v60, v54
	v_add_f32_e32 v61, v86, v62
	v_lshlrev_b32_e32 v113, 3, v40
	v_mul_u32_u24_sdwa v40, v41, s12 dst_sel:DWORD dst_unused:UNUSED_PAD src0_sel:WORD_0 src1_sel:DWORD
	v_fmac_f32_e32 v60, 0x3f5db3d7, v59
	v_fmac_f32_e32 v54, 0xbf5db3d7, v59
	v_add_f32_e32 v59, v55, v86
	v_fma_f32 v55, -0.5, v61, v55
	v_lshrrev_b32_e32 v40, 21, v40
	v_mul_f32_e32 v91, v64, v39
	v_add_f32_e32 v59, v59, v62
	v_sub_f32_e32 v62, v85, v87
	v_mov_b32_e32 v61, v55
	v_add_f32_e32 v63, v88, v90
	v_mul_lo_u16_e32 v40, 0x99, v40
	v_fmac_f32_e32 v91, v65, v38
	v_fmac_f32_e32 v61, 0xbf5db3d7, v62
	;; [unrolled: 1-line block ×3, first 2 shown]
	v_add_f32_e32 v62, v56, v88
	v_fma_f32 v56, -0.5, v63, v56
	v_sub_u16_e32 v40, v41, v40
	v_sub_f32_e32 v63, v89, v91
	v_mov_b32_e32 v64, v56
	v_add_f32_e32 v65, v89, v91
	v_lshlrev_b32_e32 v117, 3, v40
	v_mul_u32_u24_sdwa v40, v74, s12 dst_sel:DWORD dst_unused:UNUSED_PAD src0_sel:WORD_0 src1_sel:DWORD
	v_fmac_f32_e32 v64, 0x3f5db3d7, v63
	v_fmac_f32_e32 v56, 0xbf5db3d7, v63
	v_add_f32_e32 v63, v57, v89
	v_fmac_f32_e32 v57, -0.5, v65
	v_lshrrev_b32_e32 v40, 21, v40
	v_sub_f32_e32 v76, v88, v90
	v_mov_b32_e32 v65, v57
	v_mul_lo_u16_e32 v40, 0x99, v40
	v_add_f32_e32 v50, v50, v83
	v_add_f32_e32 v51, v51, v84
	;; [unrolled: 1-line block ×5, first 2 shown]
	v_fmac_f32_e32 v65, 0xbf5db3d7, v76
	v_sub_u16_e32 v40, v74, v40
	v_fmac_f32_e32 v57, 0x3f5db3d7, v76
	ds_write2_b64 v122, v[50:51], v[52:53] offset1:51
	ds_write_b64 v122, v[44:45] offset:816
	ds_write2_b64 v123, v[58:59], v[60:61] offset1:51
	ds_write_b64 v123, v[54:55] offset:816
	;; [unrolled: 2-line block ×3, first 2 shown]
	s_waitcnt lgkmcnt(0)
	s_barrier
	global_load_dwordx2 v[83:84], v111, s[2:3] offset:1088
	global_load_dwordx2 v[87:88], v113, s[2:3] offset:1088
	;; [unrolled: 1-line block ×3, first 2 shown]
	v_lshlrev_b32_e32 v119, 3, v40
	global_load_dwordx2 v[91:92], v119, s[2:3] offset:1088
	v_mul_u32_u24_sdwa v40, v75, s12 dst_sel:DWORD dst_unused:UNUSED_PAD src0_sel:WORD_0 src1_sel:DWORD
	v_lshrrev_b32_e32 v40, 21, v40
	v_mul_lo_u16_e32 v40, 0x99, v40
	v_sub_u16_e32 v40, v75, v40
	v_lshlrev_b32_e32 v120, 3, v40
	global_load_dwordx2 v[89:90], v120, s[2:3] offset:1088
	ds_read2_b64 v[40:43], v112 offset1:153
	ds_read2_b64 v[44:47], v100 offset0:22 offset1:175
	ds_read2_b64 v[48:51], v101 offset0:50 offset1:203
	;; [unrolled: 1-line block ×5, first 2 shown]
	s_waitcnt vmcnt(0) lgkmcnt(0)
	s_barrier
	v_mul_f32_e32 v64, v45, v84
	v_fma_f32 v64, v44, v83, -v64
	v_mul_f32_e32 v65, v44, v84
	v_mul_f32_e32 v44, v47, v84
	v_fma_f32 v66, v46, v83, -v44
	v_mul_f32_e32 v44, v53, v88
	v_fma_f32 v68, v52, v87, -v44
	;; [unrolled: 2-line block ×3, first 2 shown]
	v_mul_f32_e32 v44, v61, v92
	v_fmac_f32_e32 v65, v45, v83
	v_mul_f32_e32 v67, v46, v84
	v_mul_f32_e32 v69, v52, v88
	v_fma_f32 v72, v60, v91, -v44
	v_mul_f32_e32 v44, v63, v90
	v_fmac_f32_e32 v67, v47, v83
	v_fmac_f32_e32 v69, v53, v87
	v_fma_f32 v74, v62, v89, -v44
	v_sub_f32_e32 v44, v40, v64
	v_sub_f32_e32 v45, v41, v65
	v_mul_f32_e32 v71, v54, v86
	v_fma_f32 v40, v40, 2.0, -v44
	v_fma_f32 v41, v41, 2.0, -v45
	v_sub_f32_e32 v46, v42, v66
	v_sub_f32_e32 v47, v43, v67
	;; [unrolled: 1-line block ×4, first 2 shown]
	v_fmac_f32_e32 v71, v55, v85
	v_mul_f32_e32 v73, v60, v92
	v_fma_f32 v42, v42, 2.0, -v46
	v_fma_f32 v43, v43, 2.0, -v47
	;; [unrolled: 1-line block ×4, first 2 shown]
	ds_write2_b64 v112, v[40:41], v[44:45] offset1:153
	ds_write2_b64 v101, v[42:43], v[46:47] offset0:50 offset1:203
	v_add_u32_e32 v40, 0x1000, v113
	v_fmac_f32_e32 v73, v61, v91
	v_mul_f32_e32 v75, v62, v90
	v_sub_f32_e32 v54, v50, v70
	v_sub_f32_e32 v55, v51, v71
	ds_write2_b64 v40, v[48:49], v[52:53] offset0:100 offset1:253
	v_mad_u64_u32 v[48:49], s[2:3], v110, 40, s[2:3]
	v_fmac_f32_e32 v75, v63, v89
	v_fma_f32 v50, v50, 2.0, -v54
	v_fma_f32 v51, v51, 2.0, -v55
	v_sub_f32_e32 v60, v56, v72
	v_sub_f32_e32 v61, v57, v73
	v_add_u32_e32 v40, 0x1c00, v117
	v_fma_f32 v56, v56, 2.0, -v60
	v_fma_f32 v57, v57, 2.0, -v61
	v_sub_f32_e32 v62, v58, v74
	v_sub_f32_e32 v63, v59, v75
	ds_write2_b64 v40, v[50:51], v[54:55] offset0:22 offset1:175
	v_add_u32_e32 v40, 0x2400, v119
	v_fma_f32 v58, v58, 2.0, -v62
	v_fma_f32 v59, v59, 2.0, -v63
	ds_write2_b64 v40, v[56:57], v[60:61] offset0:72 offset1:225
	v_add_u32_e32 v40, 0x2e00, v120
	ds_write2_b64 v40, v[58:59], v[62:63] offset0:58 offset1:211
	s_waitcnt lgkmcnt(0)
	s_barrier
	global_load_dwordx4 v[44:47], v[48:49], off offset:2312
	global_load_dwordx4 v[40:43], v[48:49], off offset:2328
	global_load_dwordx2 v[93:94], v[48:49], off offset:2344
	s_movk_i32 s2, 0x2000
	v_add_co_u32_e32 v50, vcc, s2, v48
	v_addc_co_u32_e32 v51, vcc, 0, v49, vcc
	global_load_dwordx4 v[52:55], v[50:51], off offset:240
	s_movk_i32 s2, 0x20f0
	v_add_co_u32_e32 v56, vcc, s2, v48
	v_addc_co_u32_e32 v57, vcc, 0, v49, vcc
	global_load_dwordx4 v[48:51], v[56:57], off offset:16
	global_load_dwordx2 v[95:96], v[56:57], off offset:32
	ds_read2_b64 v[76:79], v112 offset1:153
	ds_read2_b64 v[56:59], v101 offset0:50 offset1:203
	ds_read2_b64 v[60:63], v99 offset0:100 offset1:253
	ds_read2_b64 v[64:67], v100 offset0:22 offset1:175
	ds_read2_b64 v[68:71], v97 offset0:72 offset1:225
	ds_read2_b64 v[72:75], v98 offset0:58 offset1:211
	s_waitcnt vmcnt(5) lgkmcnt(4)
	v_mul_f32_e32 v80, v57, v45
	v_fma_f32 v80, v56, v44, -v80
	v_mul_f32_e32 v102, v56, v45
	s_waitcnt lgkmcnt(3)
	v_mul_f32_e32 v56, v61, v47
	v_fmac_f32_e32 v102, v57, v44
	v_fma_f32 v56, v60, v46, -v56
	v_mul_f32_e32 v57, v60, v47
	s_waitcnt vmcnt(4) lgkmcnt(2)
	v_mul_f32_e32 v60, v65, v41
	v_fmac_f32_e32 v57, v61, v46
	v_fma_f32 v60, v64, v40, -v60
	v_mul_f32_e32 v61, v64, v41
	s_waitcnt lgkmcnt(1)
	v_mul_f32_e32 v64, v69, v43
	v_fmac_f32_e32 v61, v65, v40
	v_fma_f32 v64, v68, v42, -v64
	v_mul_f32_e32 v65, v68, v43
	s_waitcnt vmcnt(3) lgkmcnt(0)
	v_mul_f32_e32 v68, v73, v94
	v_fmac_f32_e32 v65, v69, v42
	v_fma_f32 v68, v72, v93, -v68
	v_mul_f32_e32 v69, v72, v94
	s_waitcnt vmcnt(2)
	v_mul_f32_e32 v72, v59, v53
	v_fmac_f32_e32 v69, v73, v93
	v_fma_f32 v73, v58, v52, -v72
	v_mul_f32_e32 v103, v58, v53
	v_mul_f32_e32 v58, v63, v55
	v_fma_f32 v72, v62, v54, -v58
	s_waitcnt vmcnt(1)
	v_mul_f32_e32 v58, v67, v49
	v_fma_f32 v105, v66, v48, -v58
	v_mul_f32_e32 v58, v71, v51
	v_fma_f32 v107, v70, v50, -v58
	v_mul_f32_e32 v70, v70, v51
	s_waitcnt vmcnt(0)
	v_mul_f32_e32 v58, v75, v96
	v_fmac_f32_e32 v70, v71, v50
	v_fma_f32 v71, v74, v95, -v58
	v_add_f32_e32 v58, v76, v56
	v_mul_f32_e32 v104, v62, v55
	v_add_f32_e32 v62, v58, v64
	v_add_f32_e32 v58, v56, v64
	v_fmac_f32_e32 v104, v63, v54
	v_fma_f32 v63, -0.5, v58, v76
	v_mul_f32_e32 v106, v66, v49
	v_sub_f32_e32 v58, v57, v65
	v_mov_b32_e32 v66, v63
	v_mul_f32_e32 v74, v74, v96
	v_fmac_f32_e32 v66, 0x3f5db3d7, v58
	v_fmac_f32_e32 v63, 0xbf5db3d7, v58
	v_add_f32_e32 v58, v77, v57
	v_add_f32_e32 v57, v57, v65
	v_fmac_f32_e32 v74, v75, v95
	v_fma_f32 v75, -0.5, v57, v77
	v_fmac_f32_e32 v106, v67, v48
	v_add_f32_e32 v67, v58, v65
	v_sub_f32_e32 v56, v56, v64
	v_mov_b32_e32 v65, v75
	v_fmac_f32_e32 v65, 0xbf5db3d7, v56
	v_fmac_f32_e32 v75, 0x3f5db3d7, v56
	v_add_f32_e32 v56, v80, v60
	v_add_f32_e32 v64, v56, v68
	;; [unrolled: 1-line block ×3, first 2 shown]
	v_fmac_f32_e32 v80, -0.5, v56
	v_fmac_f32_e32 v103, v59, v52
	v_sub_f32_e32 v56, v61, v69
	v_mov_b32_e32 v59, v80
	v_fmac_f32_e32 v59, 0x3f5db3d7, v56
	v_fmac_f32_e32 v80, 0xbf5db3d7, v56
	v_add_f32_e32 v56, v102, v61
	v_add_f32_e32 v76, v56, v69
	v_add_f32_e32 v56, v61, v69
	v_fmac_f32_e32 v102, -0.5, v56
	v_sub_f32_e32 v56, v60, v68
	v_mov_b32_e32 v61, v102
	v_fmac_f32_e32 v61, 0xbf5db3d7, v56
	v_fmac_f32_e32 v102, 0x3f5db3d7, v56
	v_mul_f32_e32 v68, 0x3f5db3d7, v61
	v_mul_f32_e32 v69, -0.5, v80
	v_fmac_f32_e32 v68, 0.5, v59
	v_fmac_f32_e32 v69, 0x3f5db3d7, v102
	v_mul_f32_e32 v102, -0.5, v102
	v_add_f32_e32 v56, v62, v64
	v_add_f32_e32 v58, v66, v68
	v_mul_f32_e32 v77, 0xbf5db3d7, v59
	v_fmac_f32_e32 v102, 0xbf5db3d7, v80
	v_sub_f32_e32 v62, v62, v64
	v_sub_f32_e32 v64, v66, v68
	v_add_f32_e32 v68, v78, v72
	v_add_f32_e32 v60, v63, v69
	;; [unrolled: 1-line block ×3, first 2 shown]
	v_fmac_f32_e32 v77, 0.5, v61
	v_add_f32_e32 v61, v75, v102
	v_sub_f32_e32 v66, v63, v69
	v_sub_f32_e32 v63, v67, v76
	;; [unrolled: 1-line block ×3, first 2 shown]
	v_add_f32_e32 v75, v68, v107
	v_add_f32_e32 v68, v72, v107
	;; [unrolled: 1-line block ×3, first 2 shown]
	v_sub_f32_e32 v65, v65, v77
	v_fma_f32 v77, -0.5, v68, v78
	v_sub_f32_e32 v68, v104, v70
	v_mov_b32_e32 v76, v77
	v_fmac_f32_e32 v76, 0x3f5db3d7, v68
	v_fmac_f32_e32 v77, 0xbf5db3d7, v68
	v_add_f32_e32 v68, v79, v104
	v_add_f32_e32 v80, v68, v70
	v_add_f32_e32 v68, v104, v70
	v_fmac_f32_e32 v79, -0.5, v68
	v_sub_f32_e32 v68, v72, v107
	v_mov_b32_e32 v102, v79
	v_fmac_f32_e32 v102, 0xbf5db3d7, v68
	v_fmac_f32_e32 v79, 0x3f5db3d7, v68
	v_add_f32_e32 v68, v73, v105
	v_add_f32_e32 v78, v68, v71
	v_add_f32_e32 v68, v105, v71
	v_fmac_f32_e32 v73, -0.5, v68
	v_sub_f32_e32 v68, v106, v74
	v_mov_b32_e32 v104, v73
	v_fmac_f32_e32 v104, 0x3f5db3d7, v68
	v_fmac_f32_e32 v73, 0xbf5db3d7, v68
	v_add_f32_e32 v68, v103, v106
	v_add_f32_e32 v107, v68, v74
	v_add_f32_e32 v68, v106, v74
	v_fmac_f32_e32 v103, -0.5, v68
	v_sub_f32_e32 v68, v105, v71
	v_mov_b32_e32 v71, v103
	v_fmac_f32_e32 v71, 0xbf5db3d7, v68
	v_fmac_f32_e32 v103, 0x3f5db3d7, v68
	v_mul_f32_e32 v105, 0x3f5db3d7, v71
	v_mul_f32_e32 v106, -0.5, v73
	v_fmac_f32_e32 v105, 0.5, v104
	v_fmac_f32_e32 v106, 0x3f5db3d7, v103
	v_mul_f32_e32 v104, 0xbf5db3d7, v104
	v_mul_f32_e32 v103, -0.5, v103
	v_fmac_f32_e32 v104, 0.5, v71
	v_fmac_f32_e32 v103, 0xbf5db3d7, v73
	v_add_f32_e32 v68, v75, v78
	v_add_f32_e32 v70, v76, v105
	;; [unrolled: 1-line block ×6, first 2 shown]
	v_sub_f32_e32 v74, v75, v78
	v_sub_f32_e32 v76, v76, v105
	;; [unrolled: 1-line block ×6, first 2 shown]
	ds_write2_b64 v112, v[56:57], v[68:69] offset1:153
	ds_write2_b64 v101, v[58:59], v[70:71] offset0:50 offset1:203
	ds_write2_b64 v99, v[60:61], v[72:73] offset0:100 offset1:253
	;; [unrolled: 1-line block ×5, first 2 shown]
	s_waitcnt lgkmcnt(0)
	s_barrier
	s_and_saveexec_b64 s[2:3], s[0:1]
	s_cbranch_execz .LBB0_9
; %bb.8:
	v_mov_b32_e32 v80, s9
	v_add_co_u32_e32 v103, vcc, s8, v109
	v_addc_co_u32_e32 v80, vcc, 0, v80, vcc
	v_add_co_u32_e32 v97, vcc, 0x3960, v103
	v_addc_co_u32_e32 v98, vcc, 0, v80, vcc
	;; [unrolled: 2-line block ×3, first 2 shown]
	s_movk_i32 s12, 0x4000
	global_load_dwordx2 v[101:102], v[99:100], off offset:2400
	global_load_dwordx2 v[133:134], v[97:98], off offset:864
	;; [unrolled: 1-line block ×4, first 2 shown]
                                        ; kill: killed $vgpr99 killed $vgpr100
	global_load_dwordx2 v[139:140], v[97:98], off offset:3456
	v_add_co_u32_e32 v97, vcc, s12, v103
	v_addc_co_u32_e32 v98, vcc, 0, v80, vcc
	s_movk_i32 s12, 0x5000
	global_load_dwordx2 v[141:142], v[97:98], off offset:2624
	global_load_dwordx2 v[143:144], v[97:98], off offset:3488
	v_add_co_u32_e32 v97, vcc, s12, v103
	v_addc_co_u32_e32 v98, vcc, 0, v80, vcc
	global_load_dwordx2 v[145:146], v[97:98], off offset:256
	global_load_dwordx2 v[147:148], v[97:98], off offset:1120
	;; [unrolled: 1-line block ×4, first 2 shown]
	s_movk_i32 s12, 0x6000
	global_load_dwordx2 v[153:154], v[97:98], off offset:3712
	v_add_co_u32_e32 v97, vcc, s12, v103
	v_addc_co_u32_e32 v98, vcc, 0, v80, vcc
	global_load_dwordx2 v[155:156], v[97:98], off offset:480
	global_load_dwordx2 v[157:158], v[97:98], off offset:1344
	;; [unrolled: 1-line block ×3, first 2 shown]
	ds_read_b64 v[99:100], v112
	global_load_dwordx2 v[161:162], v[97:98], off offset:3072
	global_load_dwordx2 v[163:164], v[97:98], off offset:3936
	v_add_u32_e32 v80, 0x800, v111
	v_add_u32_e32 v167, 0x1000, v111
	v_add_u32_e32 v168, 0x1400, v111
	v_add_u32_e32 v169, 0x1c00, v111
	s_waitcnt vmcnt(16) lgkmcnt(0)
	v_mul_f32_e32 v97, v100, v102
	v_mul_f32_e32 v98, v99, v102
	v_fma_f32 v97, v99, v101, -v97
	v_fmac_f32_e32 v98, v100, v101
	ds_write_b64 v112, v[97:98]
	ds_read2_b64 v[97:100], v111 offset0:108 offset1:216
	ds_read2_b64 v[101:104], v80 offset0:68 offset1:176
	;; [unrolled: 1-line block ×5, first 2 shown]
	s_waitcnt vmcnt(15) lgkmcnt(4)
	v_mul_f32_e32 v165, v98, v134
	v_mul_f32_e32 v166, v97, v134
	s_waitcnt vmcnt(14)
	v_mul_f32_e32 v170, v100, v136
	v_mul_f32_e32 v134, v99, v136
	s_waitcnt vmcnt(13) lgkmcnt(3)
	v_mul_f32_e32 v171, v102, v138
	v_mul_f32_e32 v136, v101, v138
	s_waitcnt vmcnt(12)
	v_mul_f32_e32 v172, v104, v140
	v_mul_f32_e32 v138, v103, v140
	;; [unrolled: 6-line block ×3, first 2 shown]
	s_waitcnt vmcnt(9) lgkmcnt(1)
	v_mul_f32_e32 v175, v126, v146
	v_mul_f32_e32 v144, v125, v146
	s_waitcnt vmcnt(8)
	v_mul_f32_e32 v146, v128, v148
	v_fma_f32 v165, v97, v133, -v165
	v_fmac_f32_e32 v166, v98, v133
	v_fma_f32 v133, v99, v135, -v170
	v_fmac_f32_e32 v134, v100, v135
	v_mul_f32_e32 v98, v127, v148
	v_fma_f32 v135, v101, v137, -v171
	v_fmac_f32_e32 v136, v102, v137
	v_fma_f32 v137, v103, v139, -v172
	v_fmac_f32_e32 v138, v104, v139
	v_fma_f32 v139, v105, v141, -v173
	v_fmac_f32_e32 v140, v106, v141
	v_fma_f32 v141, v107, v143, -v174
	v_fmac_f32_e32 v142, v108, v143
	v_fma_f32 v143, v125, v145, -v175
	v_fmac_f32_e32 v144, v126, v145
	v_fma_f32 v97, v127, v147, -v146
	ds_write2_b64 v111, v[165:166], v[133:134] offset0:108 offset1:216
	ds_write2_b64 v80, v[135:136], v[137:138] offset0:68 offset1:176
	;; [unrolled: 1-line block ×3, first 2 shown]
	v_fmac_f32_e32 v98, v128, v147
	v_add_u32_e32 v107, 0x2400, v111
	ds_write2_b64 v168, v[143:144], v[97:98] offset0:116 offset1:224
	ds_read2_b64 v[97:100], v107 offset0:36 offset1:144
	s_waitcnt vmcnt(7) lgkmcnt(5)
	v_mul_f32_e32 v80, v130, v150
	v_fma_f32 v101, v129, v149, -v80
	v_mul_f32_e32 v102, v129, v150
	s_waitcnt vmcnt(6)
	v_mul_f32_e32 v80, v132, v152
	v_mul_f32_e32 v104, v131, v152
	v_fmac_f32_e32 v102, v130, v149
	v_fma_f32 v103, v131, v151, -v80
	v_fmac_f32_e32 v104, v132, v151
	s_waitcnt vmcnt(5) lgkmcnt(0)
	v_mul_f32_e32 v80, v98, v154
	v_mul_f32_e32 v106, v97, v154
	v_add_u32_e32 v108, 0x2800, v111
	ds_write2_b64 v169, v[101:102], v[103:104] offset0:76 offset1:184
	v_fma_f32 v105, v97, v153, -v80
	v_fmac_f32_e32 v106, v98, v153
	s_waitcnt vmcnt(4)
	v_mul_f32_e32 v80, v100, v156
	ds_read2_b64 v[101:104], v108 offset0:124 offset1:232
	v_mul_f32_e32 v98, v99, v156
	v_fma_f32 v97, v99, v155, -v80
	v_fmac_f32_e32 v98, v100, v155
	ds_write2_b64 v107, v[105:106], v[97:98] offset0:36 offset1:144
	v_add_u32_e32 v107, 0x3000, v111
	ds_read2_b64 v[97:100], v107 offset0:84 offset1:192
	s_waitcnt vmcnt(3) lgkmcnt(2)
	v_mul_f32_e32 v80, v102, v158
	v_mul_f32_e32 v106, v101, v158
	v_fma_f32 v105, v101, v157, -v80
	v_fmac_f32_e32 v106, v102, v157
	s_waitcnt vmcnt(2)
	v_mul_f32_e32 v80, v104, v160
	v_mul_f32_e32 v102, v103, v160
	v_fma_f32 v101, v103, v159, -v80
	v_fmac_f32_e32 v102, v104, v159
	ds_write2_b64 v108, v[105:106], v[101:102] offset0:124 offset1:232
	s_waitcnt vmcnt(1) lgkmcnt(1)
	v_mul_f32_e32 v80, v98, v162
	v_mul_f32_e32 v102, v97, v162
	v_fma_f32 v101, v97, v161, -v80
	v_fmac_f32_e32 v102, v98, v161
	s_waitcnt vmcnt(0)
	v_mul_f32_e32 v80, v100, v164
	v_mul_f32_e32 v98, v99, v164
	v_fma_f32 v97, v99, v163, -v80
	v_fmac_f32_e32 v98, v100, v163
	ds_write2_b64 v107, v[101:102], v[97:98] offset0:84 offset1:192
.LBB0_9:
	s_or_b64 exec, exec, s[2:3]
	s_waitcnt lgkmcnt(0)
	s_barrier
	s_and_saveexec_b64 s[2:3], s[0:1]
	s_cbranch_execz .LBB0_11
; %bb.10:
	v_add_u32_e32 v0, 0x400, v112
	ds_read2_b64 v[60:63], v0 offset0:88 offset1:196
	v_add_u32_e32 v0, 0xc00, v112
	ds_read2_b64 v[64:67], v0 offset0:48 offset1:156
	;; [unrolled: 2-line block ×6, first 2 shown]
	v_add_u32_e32 v0, 0x2c00, v112
	ds_read2_b64 v[56:59], v112 offset1:108
	ds_read2_b64 v[0:3], v0 offset0:104 offset1:212
	ds_read_b64 v[81:82], v112 offset:13824
.LBB0_11:
	s_or_b64 exec, exec, s[2:3]
	s_waitcnt lgkmcnt(0)
	s_barrier
	s_and_saveexec_b64 s[2:3], s[0:1]
	s_cbranch_execz .LBB0_13
; %bb.12:
	v_sub_f32_e32 v125, v58, v81
	v_mul_f32_e32 v80, 0xbf06c442, v125
	v_sub_f32_e32 v126, v60, v2
	v_add_f32_e32 v145, v82, v59
	v_mov_b32_e32 v97, v80
	v_mul_f32_e32 v101, 0x3f65296c, v126
	v_fmac_f32_e32 v97, 0xbf59a7d5, v145
	v_add_f32_e32 v149, v3, v61
	v_mov_b32_e32 v98, v101
	v_sub_f32_e32 v127, v62, v0
	v_add_f32_e32 v97, v57, v97
	v_fmac_f32_e32 v98, 0x3ee437d1, v149
	v_mul_f32_e32 v102, 0xbf7ee86f, v127
	v_add_f32_e32 v97, v98, v97
	v_add_f32_e32 v155, v1, v63
	v_mov_b32_e32 v98, v102
	v_sub_f32_e32 v128, v64, v6
	v_fmac_f32_e32 v98, 0x3dbcf732, v155
	v_mul_f32_e32 v103, 0x3f4c4adb, v128
	v_add_f32_e32 v97, v98, v97
	v_add_f32_e32 v156, v7, v65
	v_mov_b32_e32 v98, v103
	v_sub_f32_e32 v129, v66, v4
	v_fmac_f32_e32 v98, 0xbf1a4643, v156
	v_mul_f32_e32 v104, 0xbeb8f4ab, v129
	v_add_f32_e32 v97, v98, v97
	v_add_f32_e32 v157, v5, v67
	v_mov_b32_e32 v98, v104
	v_sub_f32_e32 v130, v68, v78
	v_fmac_f32_e32 v98, 0x3f6eb680, v157
	v_mul_f32_e32 v105, 0xbe3c28d5, v130
	v_add_f32_e32 v97, v98, v97
	v_add_f32_e32 v158, v79, v69
	v_mov_b32_e32 v98, v105
	v_sub_f32_e32 v131, v70, v76
	v_fmac_f32_e32 v98, 0xbf7ba420, v158
	v_mul_f32_e32 v106, 0x3f2c7751, v131
	v_add_f32_e32 v97, v98, v97
	v_add_f32_e32 v159, v77, v71
	v_mov_b32_e32 v98, v106
	v_sub_f32_e32 v132, v72, v74
	v_fmac_f32_e32 v98, 0x3f3d2fb0, v159
	v_mul_f32_e32 v107, 0xbf763a35, v132
	v_add_f32_e32 v97, v98, v97
	v_add_f32_e32 v160, v75, v73
	v_mov_b32_e32 v98, v107
	v_sub_f32_e32 v161, v59, v82
	s_mov_b32 s12, 0xbf59a7d5
	v_fmac_f32_e32 v98, 0xbe8c1d8e, v160
	v_add_f32_e32 v133, v81, v58
	v_mul_f32_e32 v108, 0xbf06c442, v161
	v_sub_f32_e32 v162, v61, v3
	s_mov_b32 s13, 0x3ee437d1
	v_add_f32_e32 v98, v98, v97
	v_fma_f32 v97, v133, s12, -v108
	v_add_f32_e32 v134, v2, v60
	v_mul_f32_e32 v151, 0x3f65296c, v162
	v_sub_f32_e32 v163, v63, v1
	s_mov_b32 s14, 0x3dbcf732
	v_add_f32_e32 v97, v56, v97
	v_fma_f32 v99, v134, s13, -v151
	;; [unrolled: 6-line block ×7, first 2 shown]
	v_add_f32_e32 v140, v74, v72
	v_mul_f32_e32 v171, 0xbf763a35, v170
	v_add_f32_e32 v97, v99, v97
	v_fma_f32 v99, v140, s19, -v171
	v_mul_f32_e32 v141, 0xbf7ba420, v145
	v_add_f32_e32 v97, v99, v97
	v_mov_b32_e32 v99, v141
	v_mul_f32_e32 v142, 0x3f6eb680, v149
	v_fmac_f32_e32 v99, 0x3e3c28d5, v125
	v_mov_b32_e32 v100, v142
	v_add_f32_e32 v99, v57, v99
	v_fmac_f32_e32 v100, 0xbeb8f4ab, v126
	v_mul_f32_e32 v143, 0xbf59a7d5, v155
	v_add_f32_e32 v99, v100, v99
	v_mov_b32_e32 v100, v143
	v_fmac_f32_e32 v100, 0x3f06c442, v127
	v_mul_f32_e32 v144, 0x3f3d2fb0, v156
	v_add_f32_e32 v99, v100, v99
	v_mov_b32_e32 v100, v144
	;; [unrolled: 4-line block ×6, first 2 shown]
	buffer_store_dword v97, off, s[20:23], 0 offset:4 ; 4-byte Folded Spill
	s_nop 0
	buffer_store_dword v98, off, s[20:23], 0 offset:8 ; 4-byte Folded Spill
	v_fmac_f32_e32 v100, 0xbf7ee86f, v132
	v_mul_f32_e32 v172, 0xbe3c28d5, v161
	v_fma_f32 v80, v145, s12, -v80
	v_add_f32_e32 v98, v100, v99
	v_mov_b32_e32 v99, v172
	v_mul_f32_e32 v173, 0x3eb8f4ab, v162
	v_add_f32_e32 v80, v57, v80
	v_fma_f32 v101, v149, s13, -v101
	v_fmac_f32_e32 v99, 0xbf7ba420, v133
	v_mov_b32_e32 v174, v173
	v_add_f32_e32 v80, v101, v80
	v_fma_f32 v101, v155, s14, -v102
	v_add_f32_e32 v99, v56, v99
	v_fmac_f32_e32 v174, 0x3f6eb680, v134
	v_add_f32_e32 v80, v101, v80
	v_fma_f32 v101, v156, s15, -v103
	v_add_f32_e32 v99, v174, v99
	v_mul_f32_e32 v174, 0xbf06c442, v163
	v_add_f32_e32 v80, v101, v80
	v_fma_f32 v101, v157, s17, -v104
	v_mov_b32_e32 v175, v174
	v_add_f32_e32 v80, v101, v80
	v_fma_f32 v101, v158, s16, -v105
	v_fmac_f32_e32 v175, 0xbf59a7d5, v135
	v_add_f32_e32 v80, v101, v80
	v_fma_f32 v101, v159, s18, -v106
	v_add_f32_e32 v99, v175, v99
	v_mul_f32_e32 v175, 0x3f2c7751, v164
	v_add_f32_e32 v80, v101, v80
	v_fma_f32 v101, v160, s19, -v107
	v_fmac_f32_e32 v108, 0xbf59a7d5, v133
	v_mov_b32_e32 v176, v175
	v_add_f32_e32 v102, v101, v80
	v_add_f32_e32 v80, v56, v108
	v_fmac_f32_e32 v151, 0x3ee437d1, v134
	v_fmac_f32_e32 v176, 0x3f3d2fb0, v136
	v_add_f32_e32 v80, v151, v80
	v_fmac_f32_e32 v152, 0x3dbcf732, v135
	v_add_f32_e32 v99, v176, v99
	v_mul_f32_e32 v176, 0xbf4c4adb, v165
	v_add_f32_e32 v80, v152, v80
	v_fmac_f32_e32 v153, 0xbf1a4643, v136
	v_mov_b32_e32 v177, v176
	v_add_f32_e32 v80, v153, v80
	v_fmac_f32_e32 v154, 0x3f6eb680, v137
	v_fmac_f32_e32 v177, 0xbf1a4643, v137
	v_add_f32_e32 v80, v154, v80
	v_fmac_f32_e32 v167, 0xbf7ba420, v138
	v_add_f32_e32 v99, v177, v99
	v_mul_f32_e32 v177, 0x3f65296c, v166
	v_add_f32_e32 v80, v167, v80
	v_fmac_f32_e32 v169, 0x3f3d2fb0, v139
	buffer_store_dword v113, off, s[20:23], 0 ; 4-byte Folded Spill
	v_mov_b32_e32 v113, v178
	v_mov_b32_e32 v178, v177
	v_add_f32_e32 v80, v169, v80
	v_fmac_f32_e32 v171, 0xbe8c1d8e, v140
	v_fmac_f32_e32 v178, 0x3ee437d1, v138
	v_add_f32_e32 v101, v171, v80
	v_mul_f32_e32 v80, 0xbf1a4643, v145
	v_add_f32_e32 v99, v178, v99
	v_mul_f32_e32 v178, 0xbf763a35, v168
	v_mov_b32_e32 v103, v80
	v_mul_f32_e32 v167, 0xbe8c1d8e, v149
	v_mov_b32_e32 v179, v178
	v_fmac_f32_e32 v103, 0x3f4c4adb, v125
	v_mov_b32_e32 v104, v167
	v_fmac_f32_e32 v179, 0xbe8c1d8e, v139
	v_add_f32_e32 v103, v57, v103
	v_fmac_f32_e32 v104, 0xbf763a35, v126
	v_mul_f32_e32 v169, 0x3f6eb680, v155
	v_add_f32_e32 v99, v179, v99
	v_mul_f32_e32 v179, 0x3f7ee86f, v170
	v_add_f32_e32 v103, v104, v103
	v_mov_b32_e32 v104, v169
	v_mov_b32_e32 v180, v179
	v_fmac_f32_e32 v104, 0x3eb8f4ab, v127
	v_mul_f32_e32 v171, 0xbf59a7d5, v156
	v_fmac_f32_e32 v180, 0x3dbcf732, v140
	v_add_f32_e32 v103, v104, v103
	v_mov_b32_e32 v104, v171
	v_add_f32_e32 v97, v180, v99
	v_fmac_f32_e32 v104, 0x3f06c442, v128
	v_mul_f32_e32 v180, 0x3dbcf732, v157
	v_add_f32_e32 v103, v104, v103
	v_mov_b32_e32 v104, v180
	v_fmac_f32_e32 v104, 0xbf7ee86f, v129
	v_mul_f32_e32 v181, 0x3f3d2fb0, v158
	v_add_f32_e32 v103, v104, v103
	v_mov_b32_e32 v104, v181
	v_fmac_f32_e32 v104, 0x3f2c7751, v130
	v_mul_f32_e32 v182, 0xbf7ba420, v159
	v_add_f32_e32 v103, v104, v103
	v_mov_b32_e32 v104, v182
	v_fmac_f32_e32 v104, 0x3e3c28d5, v131
	v_mul_f32_e32 v183, 0x3ee437d1, v160
	v_add_f32_e32 v103, v104, v103
	v_mov_b32_e32 v104, v183
	v_fmac_f32_e32 v104, 0xbf65296c, v132
	v_mul_f32_e32 v184, 0xbf4c4adb, v161
	v_add_f32_e32 v104, v104, v103
	v_mov_b32_e32 v103, v184
	v_mul_f32_e32 v185, 0x3f763a35, v162
	v_fmac_f32_e32 v103, 0xbf1a4643, v133
	v_mov_b32_e32 v105, v185
	v_add_f32_e32 v103, v56, v103
	v_fmac_f32_e32 v105, 0xbe8c1d8e, v134
	v_mul_f32_e32 v186, 0xbeb8f4ab, v163
	v_add_f32_e32 v103, v105, v103
	v_mov_b32_e32 v105, v186
	v_fmac_f32_e32 v105, 0x3f6eb680, v135
	v_mul_f32_e32 v187, 0xbf06c442, v164
	v_add_f32_e32 v103, v105, v103
	v_mov_b32_e32 v105, v187
	v_fmac_f32_e32 v105, 0xbf59a7d5, v136
	v_mul_f32_e32 v188, 0x3f7ee86f, v165
	v_add_f32_e32 v103, v105, v103
	v_mov_b32_e32 v105, v188
	v_fmac_f32_e32 v105, 0x3dbcf732, v137
	v_mul_f32_e32 v189, 0xbf2c7751, v166
	v_add_f32_e32 v103, v105, v103
	v_mov_b32_e32 v105, v189
	v_fmac_f32_e32 v105, 0x3f3d2fb0, v138
	v_mul_f32_e32 v190, 0xbe3c28d5, v168
	v_add_f32_e32 v103, v105, v103
	v_mov_b32_e32 v105, v190
	v_fmac_f32_e32 v105, 0xbf7ba420, v139
	v_mul_f32_e32 v191, 0x3f65296c, v170
	v_add_f32_e32 v103, v105, v103
	v_mov_b32_e32 v105, v191
	v_fmac_f32_e32 v105, 0x3ee437d1, v140
	v_mul_f32_e32 v192, 0xbe8c1d8e, v145
	v_add_f32_e32 v103, v105, v103
	v_mov_b32_e32 v105, v192
	v_mul_f32_e32 v193, 0xbf59a7d5, v149
	v_fmac_f32_e32 v105, 0x3f763a35, v125
	v_mov_b32_e32 v106, v193
	v_add_f32_e32 v105, v57, v105
	v_fmac_f32_e32 v106, 0xbf06c442, v126
	v_mul_f32_e32 v194, 0x3f3d2fb0, v155
	v_add_f32_e32 v105, v106, v105
	v_mov_b32_e32 v106, v194
	v_fmac_f32_e32 v106, 0xbf2c7751, v127
	v_mul_f32_e32 v195, 0x3ee437d1, v156
	v_add_f32_e32 v105, v106, v105
	v_mov_b32_e32 v106, v195
	;; [unrolled: 32-line block ×4, first 2 shown]
	v_fmac_f32_e32 v108, 0xbeb8f4ab, v128
	v_mul_f32_e32 v212, 0x3ee437d1, v157
	v_add_f32_e32 v59, v59, v57
	v_add_f32_e32 v107, v108, v107
	v_mov_b32_e32 v108, v212
	v_add_f32_e32 v59, v61, v59
	v_fmac_f32_e32 v108, 0x3f65296c, v129
	v_mul_f32_e32 v213, 0xbf59a7d5, v158
	v_add_f32_e32 v59, v63, v59
	v_add_f32_e32 v107, v108, v107
	v_mov_b32_e32 v108, v213
	v_add_f32_e32 v59, v65, v59
	;; [unrolled: 6-line block ×4, first 2 shown]
	v_fmac_f32_e32 v108, 0xbf2c7751, v132
	v_mul_f32_e32 v216, 0xbf7ee86f, v161
	v_add_f32_e32 v59, v75, v59
	v_add_f32_e32 v108, v108, v107
	v_mov_b32_e32 v107, v216
	v_mul_f32_e32 v217, 0xbe3c28d5, v162
	v_add_f32_e32 v59, v77, v59
	v_fmac_f32_e32 v107, 0x3dbcf732, v133
	v_mov_b32_e32 v151, v217
	v_add_f32_e32 v59, v79, v59
	v_add_f32_e32 v107, v56, v107
	v_fmac_f32_e32 v151, 0xbf7ba420, v134
	v_mul_f32_e32 v218, 0x3f763a35, v163
	v_add_f32_e32 v5, v5, v59
	v_add_f32_e32 v107, v151, v107
	v_mov_b32_e32 v151, v218
	v_add_f32_e32 v5, v7, v5
	v_fmac_f32_e32 v151, 0xbe8c1d8e, v135
	v_mul_f32_e32 v219, 0x3eb8f4ab, v164
	v_add_f32_e32 v1, v1, v5
	v_add_f32_e32 v107, v151, v107
	v_mov_b32_e32 v151, v219
	v_add_f32_e32 v1, v3, v1
	v_add_f32_e32 v3, v58, v56
	v_fmac_f32_e32 v151, 0x3f6eb680, v136
	v_mul_f32_e32 v220, 0xbf65296c, v165
	v_add_f32_e32 v3, v60, v3
	v_add_f32_e32 v107, v151, v107
	v_mov_b32_e32 v151, v220
	v_add_f32_e32 v3, v62, v3
	v_fmac_f32_e32 v151, 0x3ee437d1, v137
	v_mul_f32_e32 v221, 0xbf06c442, v166
	v_add_f32_e32 v3, v64, v3
	v_add_f32_e32 v107, v151, v107
	v_mov_b32_e32 v151, v221
	;; [unrolled: 6-line block ×5, first 2 shown]
	v_mul_f32_e32 v225, 0xbf1a4643, v149
	v_add_f32_e32 v3, v78, v3
	v_fmac_f32_e32 v151, 0x3f65296c, v125
	v_mov_b32_e32 v152, v225
	v_add_f32_e32 v3, v4, v3
	v_add_f32_e32 v151, v57, v151
	v_fmac_f32_e32 v152, 0x3f4c4adb, v126
	v_mul_f32_e32 v226, 0xbf7ba420, v155
	v_add_f32_e32 v3, v6, v3
	v_add_f32_e32 v151, v152, v151
	v_mov_b32_e32 v152, v226
	v_add_f32_e32 v0, v0, v3
	v_fmac_f32_e32 v141, 0xbe3c28d5, v125
	v_fmac_f32_e32 v152, 0xbe3c28d5, v127
	v_mul_f32_e32 v227, 0xbe8c1d8e, v156
	v_add_f32_e32 v0, v2, v0
	v_add_f32_e32 v2, v57, v141
	v_fmac_f32_e32 v142, 0x3eb8f4ab, v126
	v_add_f32_e32 v151, v152, v151
	v_mov_b32_e32 v152, v227
	v_add_f32_e32 v2, v142, v2
	v_fmac_f32_e32 v143, 0xbf06c442, v127
	v_fmac_f32_e32 v152, 0xbf763a35, v128
	v_mul_f32_e32 v228, 0x3f3d2fb0, v157
	v_add_f32_e32 v2, v143, v2
	v_fmac_f32_e32 v144, 0x3f2c7751, v128
	v_add_f32_e32 v151, v152, v151
	v_mov_b32_e32 v152, v228
	v_add_f32_e32 v2, v144, v2
	v_fmac_f32_e32 v146, 0xbf4c4adb, v129
	v_fmac_f32_e32 v152, 0xbf2c7751, v129
	v_mul_f32_e32 v229, 0x3f6eb680, v158
	v_add_f32_e32 v2, v146, v2
	v_fmac_f32_e32 v147, 0x3f65296c, v130
	v_add_f32_e32 v151, v152, v151
	v_mov_b32_e32 v152, v229
	v_add_f32_e32 v2, v147, v2
	v_fmac_f32_e32 v148, 0xbf763a35, v131
	v_fmac_f32_e32 v152, 0x3eb8f4ab, v130
	v_mul_f32_e32 v230, 0x3dbcf732, v159
	v_add_f32_e32 v2, v148, v2
	v_fmac_f32_e32 v150, 0x3f7ee86f, v132
	v_add_f32_e32 v151, v152, v151
	v_mov_b32_e32 v152, v230
	v_add_f32_e32 v3, v150, v2
	v_fma_f32 v2, v133, s16, -v172
	v_fmac_f32_e32 v152, 0x3f7ee86f, v131
	v_mul_f32_e32 v231, 0xbf59a7d5, v160
	v_add_f32_e32 v2, v56, v2
	v_fma_f32 v4, v134, s17, -v173
	v_add_f32_e32 v151, v152, v151
	v_mov_b32_e32 v152, v231
	v_add_f32_e32 v2, v4, v2
	v_fma_f32 v4, v135, s12, -v174
	v_fmac_f32_e32 v152, 0x3f06c442, v132
	v_mul_f32_e32 v232, 0xbf65296c, v161
	v_add_f32_e32 v2, v4, v2
	v_fma_f32 v4, v136, s18, -v175
	v_add_f32_e32 v152, v152, v151
	v_mov_b32_e32 v151, v232
	v_mul_f32_e32 v233, 0xbf4c4adb, v162
	v_add_f32_e32 v2, v4, v2
	v_fma_f32 v4, v137, s15, -v176
	v_fmac_f32_e32 v151, 0x3ee437d1, v133
	v_mov_b32_e32 v153, v233
	v_add_f32_e32 v2, v4, v2
	v_fma_f32 v4, v138, s13, -v177
	v_add_f32_e32 v151, v56, v151
	v_fmac_f32_e32 v153, 0xbf1a4643, v134
	v_mul_f32_e32 v234, 0x3e3c28d5, v163
	v_add_f32_e32 v2, v4, v2
	v_fma_f32 v4, v139, s19, -v178
	v_add_f32_e32 v151, v153, v151
	v_mov_b32_e32 v153, v234
	v_add_f32_e32 v2, v4, v2
	v_fma_f32 v4, v140, s14, -v179
	v_fmac_f32_e32 v80, 0xbf4c4adb, v125
	v_fmac_f32_e32 v153, 0xbf7ba420, v135
	v_mul_f32_e32 v235, 0x3f763a35, v164
	v_add_f32_e32 v2, v4, v2
	v_add_f32_e32 v4, v57, v80
	v_fmac_f32_e32 v167, 0x3f763a35, v126
	v_add_f32_e32 v151, v153, v151
	v_mov_b32_e32 v153, v235
	v_add_f32_e32 v4, v167, v4
	v_fmac_f32_e32 v169, 0xbeb8f4ab, v127
	v_fmac_f32_e32 v153, 0xbe8c1d8e, v136
	v_mul_f32_e32 v236, 0x3f2c7751, v165
	v_add_f32_e32 v4, v169, v4
	v_fmac_f32_e32 v171, 0xbf06c442, v128
	v_add_f32_e32 v151, v153, v151
	v_mov_b32_e32 v153, v236
	v_add_f32_e32 v4, v171, v4
	v_fmac_f32_e32 v180, 0x3f7ee86f, v129
	v_fmac_f32_e32 v153, 0x3f3d2fb0, v137
	v_mul_f32_e32 v237, 0xbeb8f4ab, v166
	;; [unrolled: 8-line block ×3, first 2 shown]
	v_add_f32_e32 v4, v182, v4
	v_fmac_f32_e32 v183, 0x3f65296c, v132
	v_add_f32_e32 v151, v153, v151
	v_mov_b32_e32 v153, v238
	v_add_f32_e32 v5, v183, v4
	v_fma_f32 v4, v133, s15, -v184
	v_fmac_f32_e32 v153, 0x3dbcf732, v139
	v_mul_f32_e32 v239, 0xbf06c442, v170
	v_add_f32_e32 v4, v56, v4
	v_fma_f32 v6, v134, s19, -v185
	v_add_f32_e32 v151, v153, v151
	v_mov_b32_e32 v153, v239
	v_add_f32_e32 v4, v6, v4
	v_fma_f32 v6, v135, s17, -v186
	v_fmac_f32_e32 v153, 0xbf59a7d5, v140
	v_mul_f32_e32 v240, 0x3f3d2fb0, v145
	v_add_f32_e32 v4, v6, v4
	v_fma_f32 v6, v136, s12, -v187
	v_add_f32_e32 v151, v153, v151
	v_mov_b32_e32 v153, v240
	v_mul_f32_e32 v241, 0x3dbcf732, v149
	v_add_f32_e32 v4, v6, v4
	v_fma_f32 v6, v137, s14, -v188
	v_fmac_f32_e32 v153, 0x3f2c7751, v125
	v_mov_b32_e32 v154, v241
	v_add_f32_e32 v4, v6, v4
	v_fma_f32 v6, v138, s18, -v189
	v_add_f32_e32 v153, v57, v153
	v_fmac_f32_e32 v154, 0x3f7ee86f, v126
	v_mul_f32_e32 v242, 0xbf1a4643, v155
	v_add_f32_e32 v4, v6, v4
	v_fma_f32 v6, v139, s16, -v190
	v_add_f32_e32 v153, v154, v153
	v_mov_b32_e32 v154, v242
	v_add_f32_e32 v4, v6, v4
	v_fma_f32 v6, v140, s13, -v191
	v_fmac_f32_e32 v192, 0xbf763a35, v125
	v_fmac_f32_e32 v154, 0x3f4c4adb, v127
	v_mul_f32_e32 v243, 0xbf7ba420, v156
	v_add_f32_e32 v4, v6, v4
	v_add_f32_e32 v6, v57, v192
	v_fmac_f32_e32 v193, 0x3f06c442, v126
	v_add_f32_e32 v153, v154, v153
	v_mov_b32_e32 v154, v243
	v_add_f32_e32 v6, v193, v6
	v_fmac_f32_e32 v194, 0x3f2c7751, v127
	v_fmac_f32_e32 v154, 0x3e3c28d5, v128
	v_mul_f32_e32 v244, 0xbf59a7d5, v157
	v_add_f32_e32 v6, v194, v6
	v_fmac_f32_e32 v195, 0xbf65296c, v128
	v_add_f32_e32 v153, v154, v153
	v_mov_b32_e32 v154, v244
	v_add_f32_e32 v6, v195, v6
	v_fmac_f32_e32 v196, 0xbe3c28d5, v129
	v_fmac_f32_e32 v154, 0xbf06c442, v129
	v_mul_f32_e32 v245, 0xbe8c1d8e, v158
	;; [unrolled: 8-line block ×3, first 2 shown]
	v_add_f32_e32 v6, v198, v6
	v_fmac_f32_e32 v199, 0xbf4c4adb, v132
	v_add_f32_e32 v153, v154, v153
	v_mov_b32_e32 v154, v246
	v_add_f32_e32 v7, v199, v6
	v_fma_f32 v6, v133, s19, -v200
	v_fmac_f32_e32 v154, 0xbf65296c, v131
	v_mul_f32_e32 v247, 0x3f6eb680, v160
	v_add_f32_e32 v6, v56, v6
	v_fma_f32 v58, v134, s12, -v201
	v_add_f32_e32 v153, v154, v153
	v_mov_b32_e32 v154, v247
	v_add_f32_e32 v6, v58, v6
	v_fma_f32 v58, v135, s18, -v202
	v_fmac_f32_e32 v154, 0xbeb8f4ab, v132
	v_mul_f32_e32 v248, 0xbf2c7751, v161
	v_add_f32_e32 v6, v58, v6
	v_fma_f32 v58, v136, s13, -v203
	v_add_f32_e32 v154, v154, v153
	v_mov_b32_e32 v153, v248
	v_mul_f32_e32 v249, 0xbf7ee86f, v162
	v_add_f32_e32 v6, v58, v6
	v_fma_f32 v58, v137, s16, -v204
	v_fmac_f32_e32 v153, 0x3f3d2fb0, v133
	v_mov_b32_e32 v250, v249
	v_add_f32_e32 v6, v58, v6
	v_fma_f32 v58, v138, s14, -v205
	v_add_f32_e32 v153, v56, v153
	v_fmac_f32_e32 v250, 0x3dbcf732, v134
	v_add_f32_e32 v6, v58, v6
	v_fma_f32 v58, v139, s17, -v206
	v_add_f32_e32 v153, v250, v153
	v_mul_f32_e32 v250, 0xbf4c4adb, v163
	v_add_f32_e32 v6, v58, v6
	v_fma_f32 v58, v140, s15, -v207
	v_fmac_f32_e32 v208, 0xbf7ee86f, v125
	v_mov_b32_e32 v251, v250
	v_add_f32_e32 v6, v58, v6
	v_add_f32_e32 v58, v57, v208
	v_fmac_f32_e32 v209, 0xbe3c28d5, v126
	v_fmac_f32_e32 v251, 0xbf1a4643, v135
	v_add_f32_e32 v58, v209, v58
	v_fmac_f32_e32 v210, 0x3f763a35, v127
	v_add_f32_e32 v153, v251, v153
	v_mul_f32_e32 v251, 0xbe3c28d5, v164
	v_add_f32_e32 v58, v210, v58
	v_fmac_f32_e32 v211, 0x3eb8f4ab, v128
	v_mov_b32_e32 v252, v251
	v_add_f32_e32 v58, v211, v58
	v_fmac_f32_e32 v212, 0xbf65296c, v129
	v_fmac_f32_e32 v252, 0xbf7ba420, v136
	v_add_f32_e32 v58, v212, v58
	v_fmac_f32_e32 v213, 0xbf06c442, v130
	v_add_f32_e32 v153, v252, v153
	v_mul_f32_e32 v252, 0x3f06c442, v165
	v_add_f32_e32 v58, v213, v58
	v_fmac_f32_e32 v214, 0x3f4c4adb, v131
	v_mov_b32_e32 v253, v252
	v_add_f32_e32 v58, v214, v58
	v_fmac_f32_e32 v215, 0x3f2c7751, v132
	v_fmac_f32_e32 v253, 0xbf59a7d5, v137
	v_add_f32_e32 v59, v215, v58
	v_fma_f32 v58, v133, s14, -v216
	v_add_f32_e32 v153, v253, v153
	v_mul_f32_e32 v253, 0x3f763a35, v166
	v_add_f32_e32 v58, v56, v58
	v_fma_f32 v60, v134, s16, -v217
	v_mov_b32_e32 v254, v253
	v_add_f32_e32 v58, v60, v58
	v_fma_f32 v60, v135, s19, -v218
	v_fmac_f32_e32 v254, 0xbe8c1d8e, v138
	v_add_f32_e32 v58, v60, v58
	v_fma_f32 v60, v136, s17, -v219
	v_add_f32_e32 v153, v254, v153
	v_mul_f32_e32 v254, 0x3f65296c, v168
	v_add_f32_e32 v58, v60, v58
	v_fma_f32 v60, v137, s13, -v220
	buffer_store_dword v97, off, s[20:23], 0 offset:12 ; 4-byte Folded Spill
	s_nop 0
	buffer_store_dword v98, off, s[20:23], 0 offset:16 ; 4-byte Folded Spill
	v_mov_b32_e32 v255, v254
	v_add_f32_e32 v58, v60, v58
	v_fma_f32 v60, v138, s12, -v221
	v_fmac_f32_e32 v255, 0x3ee437d1, v139
	v_mov_b32_e32 v98, v123
	v_mov_b32_e32 v123, v120
	;; [unrolled: 1-line block ×4, first 2 shown]
	v_mul_f32_e32 v117, 0x3eb8f4ab, v170
	v_add_f32_e32 v58, v60, v58
	v_fma_f32 v60, v139, s15, -v222
	v_add_f32_e32 v153, v255, v153
	v_mov_b32_e32 v255, v117
	v_add_f32_e32 v58, v60, v58
	v_fma_f32 v60, v140, s18, -v223
	v_fmac_f32_e32 v224, 0xbf65296c, v125
	v_fmac_f32_e32 v255, 0x3f6eb680, v140
	v_mul_f32_e32 v145, 0x3f6eb680, v145
	v_add_f32_e32 v58, v60, v58
	v_add_f32_e32 v60, v57, v224
	v_fmac_f32_e32 v225, 0xbf4c4adb, v126
	v_add_f32_e32 v153, v255, v153
	v_mov_b32_e32 v255, v145
	v_mov_b32_e32 v99, v124
	;; [unrolled: 1-line block ×6, first 2 shown]
	v_mul_f32_e32 v118, 0x3f3d2fb0, v149
	v_add_f32_e32 v60, v225, v60
	v_fmac_f32_e32 v226, 0x3e3c28d5, v127
	v_fmac_f32_e32 v255, 0x3eb8f4ab, v125
	v_mov_b32_e32 v149, v118
	v_add_f32_e32 v60, v226, v60
	v_fmac_f32_e32 v227, 0x3f763a35, v128
	v_add_f32_e32 v255, v57, v255
	v_fmac_f32_e32 v149, 0x3f2c7751, v126
	;; [unrolled: 2-line block ×3, first 2 shown]
	v_add_f32_e32 v149, v149, v255
	v_mul_f32_e32 v255, 0x3ee437d1, v155
	v_add_f32_e32 v60, v228, v60
	v_fmac_f32_e32 v229, 0xbeb8f4ab, v130
	v_mov_b32_e32 v155, v255
	v_add_f32_e32 v60, v229, v60
	v_fmac_f32_e32 v230, 0xbf7ee86f, v131
	v_fmac_f32_e32 v155, 0x3f65296c, v127
	v_mov_b32_e32 v97, v122
	v_mov_b32_e32 v122, v119
	v_mul_f32_e32 v119, 0x3dbcf732, v156
	v_add_f32_e32 v60, v230, v60
	v_fmac_f32_e32 v231, 0xbf06c442, v132
	v_add_f32_e32 v149, v155, v149
	v_mov_b32_e32 v155, v119
	v_add_f32_e32 v61, v231, v60
	v_fma_f32 v60, v133, s13, -v232
	v_fmac_f32_e32 v155, 0x3f7ee86f, v128
	v_mul_f32_e32 v157, 0xbe8c1d8e, v157
	v_add_f32_e32 v60, v56, v60
	v_fma_f32 v62, v134, s15, -v233
	v_add_f32_e32 v149, v155, v149
	v_mov_b32_e32 v155, v157
	v_add_f32_e32 v60, v62, v60
	v_fma_f32 v62, v135, s16, -v234
	v_fmac_f32_e32 v155, 0x3f763a35, v129
	v_mul_f32_e32 v158, 0xbf1a4643, v158
	v_add_f32_e32 v60, v62, v60
	v_fma_f32 v62, v136, s19, -v235
	;; [unrolled: 8-line block ×4, first 2 shown]
	v_fmac_f32_e32 v240, 0xbf2c7751, v125
	v_add_f32_e32 v149, v155, v149
	v_mov_b32_e32 v155, v160
	v_add_f32_e32 v60, v62, v60
	v_add_f32_e32 v62, v57, v240
	v_fmac_f32_e32 v241, 0xbf7ee86f, v126
	v_fmac_f32_e32 v155, 0x3e3c28d5, v132
	v_add_f32_e32 v62, v241, v62
	v_fmac_f32_e32 v242, 0xbf4c4adb, v127
	v_add_f32_e32 v156, v155, v149
	v_mul_f32_e32 v149, 0xbeb8f4ab, v161
	v_add_f32_e32 v62, v242, v62
	v_fmac_f32_e32 v243, 0xbe3c28d5, v128
	v_mov_b32_e32 v155, v149
	v_mul_f32_e32 v161, 0xbf2c7751, v162
	v_add_f32_e32 v62, v243, v62
	v_fmac_f32_e32 v244, 0x3f06c442, v129
	v_fmac_f32_e32 v155, 0x3f6eb680, v133
	v_mov_b32_e32 v162, v161
	v_add_f32_e32 v62, v244, v62
	v_fmac_f32_e32 v245, 0x3f763a35, v130
	v_add_f32_e32 v155, v56, v155
	v_fmac_f32_e32 v162, 0x3f3d2fb0, v134
	;; [unrolled: 2-line block ×3, first 2 shown]
	v_add_f32_e32 v155, v162, v155
	v_mul_f32_e32 v162, 0xbf65296c, v163
	v_add_f32_e32 v62, v246, v62
	v_fmac_f32_e32 v247, 0x3eb8f4ab, v132
	v_mov_b32_e32 v163, v162
	v_add_f32_e32 v63, v247, v62
	v_fma_f32 v62, v133, s18, -v248
	v_fmac_f32_e32 v163, 0x3ee437d1, v135
	v_add_f32_e32 v62, v56, v62
	v_fma_f32 v64, v134, s14, -v249
	v_add_f32_e32 v155, v163, v155
	v_mul_f32_e32 v163, 0xbf7ee86f, v164
	v_add_f32_e32 v62, v64, v62
	v_fma_f32 v64, v135, s15, -v250
	v_mov_b32_e32 v164, v163
	v_add_f32_e32 v62, v64, v62
	v_fma_f32 v64, v136, s16, -v251
	v_fmac_f32_e32 v164, 0x3dbcf732, v136
	v_add_f32_e32 v62, v64, v62
	v_fma_f32 v64, v137, s12, -v252
	v_add_f32_e32 v155, v164, v155
	v_mul_f32_e32 v164, 0xbf763a35, v165
	v_add_f32_e32 v62, v64, v62
	v_fma_f32 v64, v138, s19, -v253
	;; [unrolled: 10-line block ×5, first 2 shown]
	v_mov_b32_e32 v170, v168
	v_add_f32_e32 v56, v64, v56
	v_fma_f32 v64, v140, s16, -v168
	v_fmac_f32_e32 v170, 0xbf7ba420, v140
	v_add_f32_e32 v56, v64, v56
	v_mul_lo_u16_e32 v64, 17, v110
	v_add_f32_e32 v155, v170, v155
	v_add_f32_e32 v1, v82, v1
	;; [unrolled: 1-line block ×3, first 2 shown]
	v_lshlrev_b32_e32 v64, 3, v64
	v_mov_b32_e32 v178, v113
	buffer_load_dword v113, off, s[20:23], 0 ; 4-byte Folded Reload
	ds_write2_b64 v64, v[0:1], v[155:156] offset1:1
	ds_write2_b64 v64, v[153:154], v[151:152] offset0:2 offset1:3
	ds_write2_b64 v64, v[107:108], v[105:106] offset0:4 offset1:5
	;; [unrolled: 1-line block ×3, first 2 shown]
	buffer_load_dword v0, off, s[20:23], 0 offset:12 ; 4-byte Folded Reload
	buffer_load_dword v1, off, s[20:23], 0 offset:16 ; 4-byte Folded Reload
	v_fmac_f32_e32 v145, 0xbeb8f4ab, v125
	v_add_f32_e32 v57, v57, v145
	v_fmac_f32_e32 v118, 0xbf2c7751, v126
	v_add_f32_e32 v57, v118, v57
	;; [unrolled: 2-line block ×6, first 2 shown]
	v_fmac_f32_e32 v159, 0xbf06c442, v131
	v_mov_b32_e32 v117, v114
	v_mov_b32_e32 v114, v120
	v_mov_b32_e32 v120, v123
	v_mov_b32_e32 v123, v98
	v_mov_b32_e32 v118, v115
	v_mov_b32_e32 v115, v116
	v_mov_b32_e32 v116, v121
	v_mov_b32_e32 v121, v124
	v_mov_b32_e32 v124, v99
	v_mov_b32_e32 v119, v122
	v_mov_b32_e32 v122, v97
	v_add_f32_e32 v57, v159, v57
	v_fmac_f32_e32 v160, 0xbe3c28d5, v132
	v_add_f32_e32 v57, v160, v57
	s_waitcnt vmcnt(0)
	ds_write2_b64 v64, v[0:1], v[2:3] offset0:8 offset1:9
	buffer_load_dword v0, off, s[20:23], 0 offset:4 ; 4-byte Folded Reload
	buffer_load_dword v1, off, s[20:23], 0 offset:8 ; 4-byte Folded Reload
	s_waitcnt vmcnt(0)
	ds_write2_b64 v64, v[0:1], v[4:5] offset0:10 offset1:11
	ds_write2_b64 v64, v[6:7], v[58:59] offset0:12 offset1:13
	;; [unrolled: 1-line block ×3, first 2 shown]
	ds_write_b64 v64, v[56:57] offset:128
.LBB0_13:
	s_or_b64 exec, exec, s[2:3]
	v_add_u32_e32 v1, 0x1000, v112
	s_waitcnt lgkmcnt(0)
	s_barrier
	ds_read2_b64 v[60:63], v1 offset0:100 offset1:253
	v_add_u32_e32 v0, 0x2400, v112
	ds_read2_b64 v[64:67], v0 offset0:72 offset1:225
	v_add_u32_e32 v3, 0x1c00, v112
	;; [unrolled: 2-line block ×3, first 2 shown]
	ds_read2_b64 v[56:59], v112 offset1:153
	ds_read2_b64 v[76:79], v2 offset0:58 offset1:211
	s_waitcnt lgkmcnt(4)
	v_mul_f32_e32 v80, v13, v61
	v_mul_f32_e32 v5, v13, v60
	v_fmac_f32_e32 v80, v12, v60
	v_fma_f32 v12, v12, v61, -v5
	s_waitcnt lgkmcnt(3)
	v_mul_f32_e32 v13, v15, v65
	v_mul_f32_e32 v5, v15, v64
	v_fmac_f32_e32 v13, v14, v64
	v_fma_f32 v14, v14, v65, -v5
	v_mul_f32_e32 v5, v9, v62
	v_mul_f32_e32 v15, v9, v63
	v_fma_f32 v60, v8, v63, -v5
	v_mul_f32_e32 v5, v11, v66
	v_add_u32_e32 v4, 0x800, v112
	v_fmac_f32_e32 v15, v8, v62
	v_fma_f32 v62, v10, v67, -v5
	s_waitcnt lgkmcnt(2)
	v_mul_f32_e32 v63, v21, v73
	v_mul_f32_e32 v5, v21, v72
	v_add_f32_e32 v6, v80, v13
	ds_read2_b64 v[68:71], v4 offset0:50 offset1:203
	v_mul_f32_e32 v61, v11, v67
	v_fmac_f32_e32 v63, v20, v72
	v_fma_f32 v20, v20, v73, -v5
	s_waitcnt lgkmcnt(1)
	v_mul_f32_e32 v21, v23, v77
	v_mul_f32_e32 v5, v23, v76
	v_fma_f32 v7, -0.5, v6, v56
	v_add_f32_e32 v8, v12, v14
	v_fmac_f32_e32 v61, v10, v66
	v_fmac_f32_e32 v21, v22, v76
	v_fma_f32 v22, v22, v77, -v5
	v_mul_f32_e32 v5, v17, v74
	v_sub_f32_e32 v6, v12, v14
	v_mov_b32_e32 v9, v7
	v_fma_f32 v8, -0.5, v8, v57
	v_fma_f32 v64, v16, v75, -v5
	v_mul_f32_e32 v5, v19, v78
	v_fmac_f32_e32 v9, 0xbf5db3d7, v6
	v_fmac_f32_e32 v7, 0x3f5db3d7, v6
	v_add_f32_e32 v6, v57, v12
	v_sub_f32_e32 v11, v80, v13
	v_mov_b32_e32 v10, v8
	v_add_f32_e32 v12, v15, v61
	v_mul_f32_e32 v23, v17, v75
	v_fma_f32 v66, v18, v79, -v5
	v_add_f32_e32 v5, v56, v80
	v_fmac_f32_e32 v10, 0x3f5db3d7, v11
	v_fmac_f32_e32 v8, 0xbf5db3d7, v11
	v_add_f32_e32 v11, v58, v15
	v_fma_f32 v58, -0.5, v12, v58
	v_fmac_f32_e32 v23, v16, v74
	v_add_f32_e32 v5, v5, v13
	v_add_f32_e32 v6, v6, v14
	v_sub_f32_e32 v12, v60, v62
	v_mov_b32_e32 v13, v58
	v_add_f32_e32 v14, v60, v62
	v_add_f32_e32 v16, v63, v21
	v_mul_f32_e32 v65, v19, v79
	v_fmac_f32_e32 v13, 0xbf5db3d7, v12
	v_fmac_f32_e32 v58, 0x3f5db3d7, v12
	v_add_f32_e32 v12, v59, v60
	v_fmac_f32_e32 v59, -0.5, v14
	s_waitcnt lgkmcnt(0)
	v_fma_f32 v17, -0.5, v16, v68
	v_fmac_f32_e32 v65, v18, v78
	v_sub_f32_e32 v15, v15, v61
	v_mov_b32_e32 v14, v59
	v_sub_f32_e32 v16, v20, v22
	v_mov_b32_e32 v19, v17
	v_add_f32_e32 v18, v20, v22
	v_fmac_f32_e32 v14, 0x3f5db3d7, v15
	v_fmac_f32_e32 v59, 0xbf5db3d7, v15
	v_add_f32_e32 v15, v68, v63
	v_fmac_f32_e32 v19, 0xbf5db3d7, v16
	v_fmac_f32_e32 v17, 0x3f5db3d7, v16
	v_add_f32_e32 v16, v69, v20
	v_fma_f32 v18, -0.5, v18, v69
	v_add_f32_e32 v15, v15, v21
	v_add_f32_e32 v16, v16, v22
	v_sub_f32_e32 v21, v63, v21
	v_mov_b32_e32 v20, v18
	v_add_f32_e32 v22, v23, v65
	v_fmac_f32_e32 v20, 0x3f5db3d7, v21
	v_fmac_f32_e32 v18, 0xbf5db3d7, v21
	v_add_f32_e32 v21, v70, v23
	v_fma_f32 v70, -0.5, v22, v70
	v_sub_f32_e32 v22, v64, v66
	v_mov_b32_e32 v56, v70
	v_add_f32_e32 v57, v64, v66
	v_fmac_f32_e32 v56, 0xbf5db3d7, v22
	v_fmac_f32_e32 v70, 0x3f5db3d7, v22
	v_add_f32_e32 v22, v71, v64
	v_fmac_f32_e32 v71, -0.5, v57
	v_sub_f32_e32 v23, v23, v65
	v_mov_b32_e32 v57, v71
	v_add_f32_e32 v11, v11, v61
	v_add_f32_e32 v12, v12, v62
	v_fmac_f32_e32 v57, 0x3f5db3d7, v23
	v_add_f32_e32 v21, v21, v65
	v_add_f32_e32 v22, v22, v66
	v_fmac_f32_e32 v71, 0xbf5db3d7, v23
	s_barrier
	ds_write2_b64 v114, v[5:6], v[9:10] offset1:17
	ds_write_b64 v114, v[7:8] offset:272
	ds_write2_b64 v118, v[11:12], v[13:14] offset1:17
	ds_write_b64 v118, v[58:59] offset:272
	;; [unrolled: 2-line block ×4, first 2 shown]
	s_waitcnt lgkmcnt(0)
	s_barrier
	ds_read2_b64 v[5:8], v112 offset1:153
	ds_read2_b64 v[9:12], v1 offset0:100 offset1:253
	ds_read2_b64 v[13:16], v0 offset0:72 offset1:225
	;; [unrolled: 1-line block ×5, first 2 shown]
	s_waitcnt lgkmcnt(4)
	v_mul_f32_e32 v21, v25, v10
	v_fmac_f32_e32 v21, v24, v9
	v_mul_f32_e32 v9, v25, v9
	v_fma_f32 v22, v24, v10, -v9
	s_waitcnt lgkmcnt(3)
	v_mul_f32_e32 v23, v27, v14
	v_mul_f32_e32 v9, v27, v13
	v_fmac_f32_e32 v23, v26, v13
	v_fma_f32 v13, v26, v14, -v9
	v_mul_f32_e32 v9, v29, v11
	v_fma_f32 v25, v28, v12, -v9
	v_mul_f32_e32 v9, v31, v15
	v_mul_f32_e32 v24, v29, v12
	;; [unrolled: 1-line block ×3, first 2 shown]
	v_fma_f32 v16, v30, v16, -v9
	s_waitcnt lgkmcnt(1)
	v_mul_f32_e32 v9, v33, v56
	v_fmac_f32_e32 v24, v28, v11
	v_fma_f32 v28, v32, v57, -v9
	s_waitcnt lgkmcnt(0)
	v_mul_f32_e32 v9, v35, v60
	v_fmac_f32_e32 v26, v30, v15
	v_mul_f32_e32 v27, v33, v57
	v_fma_f32 v30, v34, v61, -v9
	v_mul_f32_e32 v9, v37, v58
	v_fmac_f32_e32 v27, v32, v56
	v_mul_f32_e32 v29, v35, v61
	v_fma_f32 v32, v36, v59, -v9
	v_mul_f32_e32 v9, v39, v62
	v_add_f32_e32 v10, v21, v23
	v_fmac_f32_e32 v29, v34, v60
	v_fma_f32 v34, v38, v63, -v9
	v_add_f32_e32 v9, v5, v21
	v_fma_f32 v5, -0.5, v10, v5
	v_sub_f32_e32 v10, v22, v13
	v_mov_b32_e32 v11, v5
	v_add_f32_e32 v12, v22, v13
	v_fmac_f32_e32 v11, 0xbf5db3d7, v10
	v_fmac_f32_e32 v5, 0x3f5db3d7, v10
	v_add_f32_e32 v10, v6, v22
	v_fma_f32 v6, -0.5, v12, v6
	v_add_f32_e32 v10, v10, v13
	v_sub_f32_e32 v13, v21, v23
	v_mov_b32_e32 v12, v6
	v_add_f32_e32 v14, v24, v26
	v_fmac_f32_e32 v12, 0x3f5db3d7, v13
	v_fmac_f32_e32 v6, 0xbf5db3d7, v13
	v_add_f32_e32 v13, v7, v24
	v_fma_f32 v7, -0.5, v14, v7
	v_sub_f32_e32 v14, v25, v16
	v_mov_b32_e32 v15, v7
	v_fmac_f32_e32 v15, 0xbf5db3d7, v14
	v_fmac_f32_e32 v7, 0x3f5db3d7, v14
	v_add_f32_e32 v14, v8, v25
	v_add_f32_e32 v14, v14, v16
	;; [unrolled: 1-line block ×3, first 2 shown]
	v_fmac_f32_e32 v8, -0.5, v16
	v_sub_f32_e32 v21, v24, v26
	v_mov_b32_e32 v16, v8
	v_add_f32_e32 v22, v27, v29
	v_fmac_f32_e32 v16, 0x3f5db3d7, v21
	v_fmac_f32_e32 v8, 0xbf5db3d7, v21
	v_add_f32_e32 v21, v17, v27
	v_fma_f32 v17, -0.5, v22, v17
	v_mul_f32_e32 v31, v37, v59
	v_mul_f32_e32 v33, v39, v63
	v_add_f32_e32 v9, v9, v23
	v_sub_f32_e32 v22, v28, v30
	v_mov_b32_e32 v23, v17
	v_add_f32_e32 v24, v28, v30
	v_fmac_f32_e32 v31, v36, v58
	v_fmac_f32_e32 v33, v38, v62
	;; [unrolled: 1-line block ×4, first 2 shown]
	v_add_f32_e32 v22, v18, v28
	v_fma_f32 v18, -0.5, v24, v18
	v_add_f32_e32 v13, v13, v26
	v_sub_f32_e32 v25, v27, v29
	v_mov_b32_e32 v24, v18
	v_add_f32_e32 v26, v31, v33
	v_fmac_f32_e32 v24, 0x3f5db3d7, v25
	v_fmac_f32_e32 v18, 0xbf5db3d7, v25
	v_add_f32_e32 v25, v19, v31
	v_fma_f32 v19, -0.5, v26, v19
	v_sub_f32_e32 v26, v32, v34
	v_mov_b32_e32 v27, v19
	v_add_f32_e32 v28, v32, v34
	v_fmac_f32_e32 v27, 0xbf5db3d7, v26
	v_fmac_f32_e32 v19, 0x3f5db3d7, v26
	v_add_f32_e32 v26, v20, v32
	v_fmac_f32_e32 v20, -0.5, v28
	v_add_f32_e32 v21, v21, v29
	v_sub_f32_e32 v29, v31, v33
	v_mov_b32_e32 v28, v20
	v_add_f32_e32 v22, v22, v30
	v_add_f32_e32 v25, v25, v33
	;; [unrolled: 1-line block ×3, first 2 shown]
	v_fmac_f32_e32 v28, 0x3f5db3d7, v29
	v_fmac_f32_e32 v20, 0xbf5db3d7, v29
	s_barrier
	ds_write2_b64 v121, v[9:10], v[11:12] offset1:51
	ds_write_b64 v121, v[5:6] offset:816
	ds_write2_b64 v122, v[13:14], v[15:16] offset1:51
	ds_write_b64 v122, v[7:8] offset:816
	;; [unrolled: 2-line block ×4, first 2 shown]
	s_waitcnt lgkmcnt(0)
	s_barrier
	ds_read2_b64 v[5:8], v112 offset1:153
	ds_read2_b64 v[9:12], v3 offset0:22 offset1:175
	ds_read2_b64 v[13:16], v4 offset0:50 offset1:203
	;; [unrolled: 1-line block ×5, first 2 shown]
	s_waitcnt lgkmcnt(4)
	v_mul_f32_e32 v29, v84, v10
	v_fmac_f32_e32 v29, v83, v9
	v_mul_f32_e32 v9, v84, v9
	v_fma_f32 v10, v83, v10, -v9
	v_mul_f32_e32 v9, v84, v11
	v_mul_f32_e32 v30, v84, v12
	v_fma_f32 v12, v83, v12, -v9
	s_waitcnt lgkmcnt(2)
	v_mul_f32_e32 v9, v88, v17
	v_mul_f32_e32 v31, v88, v18
	v_fma_f32 v18, v87, v18, -v9
	v_mul_f32_e32 v9, v86, v19
	v_mul_f32_e32 v32, v86, v20
	v_fma_f32 v20, v85, v20, -v9
	s_waitcnt lgkmcnt(0)
	v_mul_f32_e32 v9, v92, v25
	v_mul_f32_e32 v33, v92, v26
	v_fma_f32 v26, v91, v26, -v9
	v_mul_f32_e32 v9, v90, v27
	v_fmac_f32_e32 v30, v83, v11
	v_fmac_f32_e32 v31, v87, v17
	v_mul_f32_e32 v34, v90, v28
	v_fma_f32 v28, v89, v28, -v9
	v_sub_f32_e32 v9, v5, v29
	v_sub_f32_e32 v10, v6, v10
	v_fmac_f32_e32 v32, v85, v19
	v_fma_f32 v5, v5, 2.0, -v9
	v_fma_f32 v6, v6, 2.0, -v10
	v_sub_f32_e32 v11, v7, v30
	v_sub_f32_e32 v12, v8, v12
	;; [unrolled: 1-line block ×4, first 2 shown]
	v_fmac_f32_e32 v33, v91, v25
	v_fma_f32 v7, v7, 2.0, -v11
	v_fma_f32 v8, v8, 2.0, -v12
	;; [unrolled: 1-line block ×4, first 2 shown]
	v_sub_f32_e32 v19, v15, v32
	v_sub_f32_e32 v20, v16, v20
	s_barrier
	ds_write2_b64 v112, v[5:6], v[9:10] offset1:153
	ds_write2_b64 v4, v[7:8], v[11:12] offset0:50 offset1:203
	v_add_u32_e32 v5, 0x1000, v113
	v_fmac_f32_e32 v34, v89, v27
	v_fma_f32 v15, v15, 2.0, -v19
	v_fma_f32 v16, v16, 2.0, -v20
	v_sub_f32_e32 v25, v21, v33
	v_sub_f32_e32 v26, v22, v26
	ds_write2_b64 v5, v[13:14], v[17:18] offset0:100 offset1:253
	v_add_u32_e32 v5, 0x1c00, v117
	v_fma_f32 v21, v21, 2.0, -v25
	v_fma_f32 v22, v22, 2.0, -v26
	v_sub_f32_e32 v27, v23, v34
	v_sub_f32_e32 v28, v24, v28
	ds_write2_b64 v5, v[15:16], v[19:20] offset0:22 offset1:175
	v_add_u32_e32 v5, 0x2400, v119
	v_fma_f32 v23, v23, 2.0, -v27
	v_fma_f32 v24, v24, 2.0, -v28
	ds_write2_b64 v5, v[21:22], v[25:26] offset0:72 offset1:225
	v_add_u32_e32 v5, 0x2e00, v120
	ds_write2_b64 v5, v[23:24], v[27:28] offset0:58 offset1:211
	s_waitcnt lgkmcnt(0)
	s_barrier
	ds_read2_b64 v[5:8], v112 offset1:153
	ds_read2_b64 v[9:12], v4 offset0:50 offset1:203
	ds_read2_b64 v[13:16], v1 offset0:100 offset1:253
	;; [unrolled: 1-line block ×5, first 2 shown]
	s_waitcnt lgkmcnt(4)
	v_mul_f32_e32 v29, v45, v10
	v_fmac_f32_e32 v29, v44, v9
	v_mul_f32_e32 v9, v45, v9
	v_fma_f32 v30, v44, v10, -v9
	s_waitcnt lgkmcnt(3)
	v_mul_f32_e32 v9, v47, v14
	v_fmac_f32_e32 v9, v46, v13
	v_mul_f32_e32 v10, v47, v13
	s_waitcnt lgkmcnt(2)
	v_mul_f32_e32 v13, v41, v18
	v_fma_f32 v10, v46, v14, -v10
	v_fmac_f32_e32 v13, v40, v17
	v_mul_f32_e32 v14, v41, v17
	s_waitcnt lgkmcnt(1)
	v_mul_f32_e32 v17, v43, v22
	v_fma_f32 v14, v40, v18, -v14
	;; [unrolled: 5-line block ×3, first 2 shown]
	v_fmac_f32_e32 v21, v93, v25
	v_mul_f32_e32 v22, v94, v25
	v_mul_f32_e32 v25, v53, v12
	v_fmac_f32_e32 v25, v52, v11
	v_mul_f32_e32 v11, v53, v11
	v_fma_f32 v22, v93, v26, -v22
	v_fma_f32 v26, v52, v12, -v11
	v_mul_f32_e32 v11, v55, v15
	v_fma_f32 v32, v54, v16, -v11
	v_mul_f32_e32 v33, v49, v20
	v_mul_f32_e32 v11, v49, v19
	v_fmac_f32_e32 v33, v48, v19
	v_fma_f32 v19, v48, v20, -v11
	v_mul_f32_e32 v20, v51, v24
	v_mul_f32_e32 v11, v51, v23
	v_fmac_f32_e32 v20, v50, v23
	v_fma_f32 v23, v50, v24, -v11
	v_mul_f32_e32 v24, v96, v28
	v_mul_f32_e32 v11, v96, v27
	v_mul_f32_e32 v31, v55, v16
	v_fmac_f32_e32 v24, v95, v27
	v_fma_f32 v27, v95, v28, -v11
	v_add_f32_e32 v11, v5, v9
	v_fmac_f32_e32 v31, v54, v15
	v_add_f32_e32 v15, v11, v17
	v_add_f32_e32 v11, v9, v17
	v_fma_f32 v16, -0.5, v11, v5
	v_sub_f32_e32 v5, v10, v18
	v_mov_b32_e32 v28, v16
	v_fmac_f32_e32 v28, 0xbf5db3d7, v5
	v_fmac_f32_e32 v16, 0x3f5db3d7, v5
	v_add_f32_e32 v5, v6, v10
	v_add_f32_e32 v34, v5, v18
	;; [unrolled: 1-line block ×3, first 2 shown]
	v_fma_f32 v18, -0.5, v5, v6
	v_sub_f32_e32 v5, v9, v17
	v_mov_b32_e32 v35, v18
	v_fmac_f32_e32 v35, 0x3f5db3d7, v5
	v_fmac_f32_e32 v18, 0xbf5db3d7, v5
	v_add_f32_e32 v5, v29, v13
	v_add_f32_e32 v17, v5, v21
	v_add_f32_e32 v5, v13, v21
	v_fmac_f32_e32 v29, -0.5, v5
	v_sub_f32_e32 v5, v14, v22
	v_mov_b32_e32 v10, v29
	v_fmac_f32_e32 v10, 0xbf5db3d7, v5
	v_fmac_f32_e32 v29, 0x3f5db3d7, v5
	v_add_f32_e32 v5, v30, v14
	v_add_f32_e32 v36, v5, v22
	;; [unrolled: 1-line block ×3, first 2 shown]
	v_fmac_f32_e32 v30, -0.5, v5
	v_sub_f32_e32 v5, v13, v21
	v_mov_b32_e32 v12, v30
	v_fmac_f32_e32 v30, 0xbf5db3d7, v5
	v_fmac_f32_e32 v12, 0x3f5db3d7, v5
	v_mul_f32_e32 v21, 0xbf5db3d7, v30
	v_mul_f32_e32 v14, 0xbf5db3d7, v12
	v_fmac_f32_e32 v21, -0.5, v29
	v_add_f32_e32 v5, v15, v17
	v_fmac_f32_e32 v14, 0.5, v10
	v_add_f32_e32 v11, v16, v21
	v_sub_f32_e32 v13, v15, v17
	v_sub_f32_e32 v17, v16, v21
	v_add_f32_e32 v21, v7, v31
	v_add_f32_e32 v9, v28, v14
	v_sub_f32_e32 v15, v28, v14
	v_add_f32_e32 v28, v21, v20
	v_add_f32_e32 v21, v31, v20
	v_mul_f32_e32 v30, -0.5, v30
	v_fma_f32 v7, -0.5, v21, v7
	v_fmac_f32_e32 v30, 0x3f5db3d7, v29
	v_sub_f32_e32 v21, v32, v23
	v_mov_b32_e32 v29, v7
	v_fmac_f32_e32 v29, 0xbf5db3d7, v21
	v_fmac_f32_e32 v7, 0x3f5db3d7, v21
	v_add_f32_e32 v21, v8, v32
	v_mul_f32_e32 v22, 0.5, v12
	v_add_f32_e32 v12, v18, v30
	v_sub_f32_e32 v18, v18, v30
	v_add_f32_e32 v30, v21, v23
	v_add_f32_e32 v21, v32, v23
	v_fmac_f32_e32 v8, -0.5, v21
	v_sub_f32_e32 v20, v31, v20
	v_mov_b32_e32 v31, v8
	v_fmac_f32_e32 v31, 0x3f5db3d7, v20
	v_fmac_f32_e32 v8, 0xbf5db3d7, v20
	v_add_f32_e32 v20, v25, v33
	v_add_f32_e32 v32, v20, v24
	;; [unrolled: 1-line block ×3, first 2 shown]
	v_fmac_f32_e32 v22, 0x3f5db3d7, v10
	v_fmac_f32_e32 v25, -0.5, v20
	v_add_f32_e32 v10, v35, v22
	v_sub_f32_e32 v16, v35, v22
	v_sub_f32_e32 v20, v19, v27
	v_mov_b32_e32 v22, v25
	v_fmac_f32_e32 v22, 0xbf5db3d7, v20
	v_fmac_f32_e32 v25, 0x3f5db3d7, v20
	v_add_f32_e32 v20, v26, v19
	v_add_f32_e32 v19, v19, v27
	v_fmac_f32_e32 v26, -0.5, v19
	v_sub_f32_e32 v19, v33, v24
	v_mov_b32_e32 v24, v26
	v_fmac_f32_e32 v24, 0x3f5db3d7, v19
	v_fmac_f32_e32 v26, 0xbf5db3d7, v19
	v_add_f32_e32 v6, v34, v36
	v_sub_f32_e32 v14, v34, v36
	v_add_f32_e32 v34, v20, v27
	v_mul_f32_e32 v27, 0xbf5db3d7, v24
	v_mul_f32_e32 v33, 0xbf5db3d7, v26
	v_mul_f32_e32 v35, 0.5, v24
	v_mul_f32_e32 v36, -0.5, v26
	s_movk_i32 s2, 0x1000
	v_add_f32_e32 v19, v28, v32
	v_fmac_f32_e32 v27, 0.5, v22
	v_fmac_f32_e32 v33, -0.5, v25
	v_add_f32_e32 v20, v30, v34
	v_fmac_f32_e32 v35, 0x3f5db3d7, v22
	v_fmac_f32_e32 v36, 0x3f5db3d7, v25
	v_add_f32_e32 v21, v29, v27
	v_add_f32_e32 v23, v7, v33
	;; [unrolled: 1-line block ×4, first 2 shown]
	v_sub_f32_e32 v25, v28, v32
	v_sub_f32_e32 v27, v29, v27
	;; [unrolled: 1-line block ×6, first 2 shown]
	ds_write2_b64 v112, v[5:6], v[19:20] offset1:153
	ds_write2_b64 v4, v[9:10], v[21:22] offset0:50 offset1:203
	ds_write2_b64 v1, v[11:12], v[23:24] offset0:100 offset1:253
	;; [unrolled: 1-line block ×5, first 2 shown]
	s_waitcnt lgkmcnt(0)
	s_barrier
	s_and_b64 exec, exec, s[0:1]
	s_cbranch_execz .LBB0_15
; %bb.14:
	global_load_dwordx2 v[0:1], v109, s[8:9]
	ds_read_b64 v[4:5], v112
	v_mad_u64_u32 v[2:3], s[0:1], s6, v178, 0
	v_mad_u64_u32 v[6:7], s[0:1], s4, v110, 0
	s_waitcnt lgkmcnt(0)
	v_mad_u64_u32 v[8:9], s[6:7], s7, v178, v[3:4]
	s_mov_b32 s0, 0x672e4abd
	s_mov_b32 s1, 0x3f41d8f5
	v_mad_u64_u32 v[9:10], s[6:7], s5, v110, v[7:8]
	v_mov_b32_e32 v11, s11
	s_mulk_i32 s5, 0x360
	v_mov_b32_e32 v7, v9
	v_lshlrev_b64 v[6:7], 3, v[6:7]
	s_mul_hi_u32 s6, s4, 0x360
	s_mul_i32 s3, s4, 0x360
	s_add_i32 s4, s6, s5
	s_waitcnt vmcnt(0)
	v_mul_f32_e32 v3, v5, v1
	v_mul_f32_e32 v1, v4, v1
	v_fmac_f32_e32 v3, v4, v0
	v_fma_f32 v4, v0, v5, -v1
	v_cvt_f64_f32_e32 v[0:1], v3
	v_cvt_f64_f32_e32 v[4:5], v4
	v_mov_b32_e32 v3, v8
	v_lshlrev_b64 v[2:3], 3, v[2:3]
	v_mul_f64 v[0:1], v[0:1], s[0:1]
	v_mul_f64 v[4:5], v[4:5], s[0:1]
	v_add_co_u32_e32 v2, vcc, s10, v2
	v_addc_co_u32_e32 v3, vcc, v11, v3, vcc
	v_cvt_f32_f64_e32 v0, v[0:1]
	v_cvt_f32_f64_e32 v1, v[4:5]
	v_add_co_u32_e32 v4, vcc, v2, v6
	v_addc_co_u32_e32 v5, vcc, v3, v7, vcc
	global_store_dwordx2 v[4:5], v[0:1], off
	global_load_dwordx2 v[6:7], v109, s[8:9] offset:864
	ds_read2_b64 v[0:3], v111 offset0:108 offset1:216
	v_add_co_u32_e32 v4, vcc, s3, v4
	s_waitcnt vmcnt(0) lgkmcnt(0)
	v_mul_f32_e32 v8, v1, v7
	v_mul_f32_e32 v7, v0, v7
	v_fmac_f32_e32 v8, v0, v6
	v_fma_f32 v6, v6, v1, -v7
	v_cvt_f64_f32_e32 v[0:1], v8
	v_cvt_f64_f32_e32 v[6:7], v6
	v_mov_b32_e32 v8, s4
	v_addc_co_u32_e32 v5, vcc, v5, v8, vcc
	v_mul_f64 v[0:1], v[0:1], s[0:1]
	v_mul_f64 v[6:7], v[6:7], s[0:1]
	v_cvt_f32_f64_e32 v0, v[0:1]
	v_cvt_f32_f64_e32 v1, v[6:7]
	global_store_dwordx2 v[4:5], v[0:1], off
	global_load_dwordx2 v[0:1], v109, s[8:9] offset:1728
	v_add_co_u32_e32 v4, vcc, s3, v4
	s_waitcnt vmcnt(0)
	v_mul_f32_e32 v6, v3, v1
	v_mul_f32_e32 v1, v2, v1
	v_fmac_f32_e32 v6, v2, v0
	v_fma_f32 v2, v0, v3, -v1
	v_cvt_f64_f32_e32 v[0:1], v6
	v_cvt_f64_f32_e32 v[2:3], v2
	v_mov_b32_e32 v6, s4
	v_addc_co_u32_e32 v5, vcc, v5, v6, vcc
	v_mul_f64 v[0:1], v[0:1], s[0:1]
	v_mul_f64 v[2:3], v[2:3], s[0:1]
	v_cvt_f32_f64_e32 v0, v[0:1]
	v_cvt_f32_f64_e32 v1, v[2:3]
	global_store_dwordx2 v[4:5], v[0:1], off
	global_load_dwordx2 v[6:7], v109, s[8:9] offset:2592
	v_add_u32_e32 v0, 0x800, v111
	ds_read2_b64 v[0:3], v0 offset0:68 offset1:176
	v_add_co_u32_e32 v4, vcc, s3, v4
	s_waitcnt vmcnt(0) lgkmcnt(0)
	v_mul_f32_e32 v8, v1, v7
	v_mul_f32_e32 v7, v0, v7
	v_fmac_f32_e32 v8, v0, v6
	v_fma_f32 v6, v6, v1, -v7
	v_cvt_f64_f32_e32 v[0:1], v8
	v_cvt_f64_f32_e32 v[6:7], v6
	v_mov_b32_e32 v8, s4
	v_addc_co_u32_e32 v5, vcc, v5, v8, vcc
	v_mul_f64 v[0:1], v[0:1], s[0:1]
	v_mul_f64 v[6:7], v[6:7], s[0:1]
	v_add_co_u32_e32 v10, vcc, s8, v109
	v_cvt_f32_f64_e32 v0, v[0:1]
	v_cvt_f32_f64_e32 v1, v[6:7]
	global_store_dwordx2 v[4:5], v[0:1], off
	global_load_dwordx2 v[0:1], v109, s[8:9] offset:3456
	s_waitcnt vmcnt(0)
	v_mul_f32_e32 v6, v3, v1
	v_mul_f32_e32 v1, v2, v1
	v_fmac_f32_e32 v6, v2, v0
	v_fma_f32 v2, v0, v3, -v1
	v_cvt_f64_f32_e32 v[0:1], v6
	v_cvt_f64_f32_e32 v[2:3], v2
	v_mov_b32_e32 v6, s9
	v_addc_co_u32_e32 v11, vcc, 0, v6, vcc
	v_mul_f64 v[0:1], v[0:1], s[0:1]
	v_mul_f64 v[2:3], v[2:3], s[0:1]
	v_add_co_u32_e32 v6, vcc, s2, v10
	v_addc_co_u32_e32 v7, vcc, 0, v11, vcc
	v_add_co_u32_e32 v4, vcc, s3, v4
	v_cvt_f32_f64_e32 v0, v[0:1]
	v_cvt_f32_f64_e32 v1, v[2:3]
	v_addc_co_u32_e32 v5, vcc, v5, v8, vcc
	s_movk_i32 s2, 0x2000
	global_store_dwordx2 v[4:5], v[0:1], off
	global_load_dwordx2 v[8:9], v[6:7], off offset:224
	v_add_u32_e32 v0, 0x1000, v111
	ds_read2_b64 v[0:3], v0 offset0:28 offset1:136
	v_add_co_u32_e32 v4, vcc, s3, v4
	s_waitcnt vmcnt(0) lgkmcnt(0)
	v_mul_f32_e32 v12, v1, v9
	v_mul_f32_e32 v9, v0, v9
	v_fmac_f32_e32 v12, v0, v8
	v_fma_f32 v8, v8, v1, -v9
	v_cvt_f64_f32_e32 v[0:1], v12
	v_cvt_f64_f32_e32 v[8:9], v8
	v_mov_b32_e32 v12, s4
	v_addc_co_u32_e32 v5, vcc, v5, v12, vcc
	v_mul_f64 v[0:1], v[0:1], s[0:1]
	v_mul_f64 v[8:9], v[8:9], s[0:1]
	v_cvt_f32_f64_e32 v0, v[0:1]
	v_cvt_f32_f64_e32 v1, v[8:9]
	global_store_dwordx2 v[4:5], v[0:1], off
	global_load_dwordx2 v[0:1], v[6:7], off offset:1088
	v_add_co_u32_e32 v4, vcc, s3, v4
	s_waitcnt vmcnt(0)
	v_mul_f32_e32 v8, v3, v1
	v_mul_f32_e32 v1, v2, v1
	v_fmac_f32_e32 v8, v2, v0
	v_fma_f32 v2, v0, v3, -v1
	v_cvt_f64_f32_e32 v[0:1], v8
	v_cvt_f64_f32_e32 v[2:3], v2
	v_mov_b32_e32 v8, s4
	v_addc_co_u32_e32 v5, vcc, v5, v8, vcc
	v_mul_f64 v[0:1], v[0:1], s[0:1]
	v_mul_f64 v[2:3], v[2:3], s[0:1]
	v_cvt_f32_f64_e32 v0, v[0:1]
	v_cvt_f32_f64_e32 v1, v[2:3]
	global_store_dwordx2 v[4:5], v[0:1], off
	global_load_dwordx2 v[8:9], v[6:7], off offset:1952
	v_add_u32_e32 v0, 0x1400, v111
	ds_read2_b64 v[0:3], v0 offset0:116 offset1:224
	v_add_co_u32_e32 v4, vcc, s3, v4
	s_waitcnt vmcnt(0) lgkmcnt(0)
	v_mul_f32_e32 v12, v1, v9
	v_mul_f32_e32 v9, v0, v9
	v_fmac_f32_e32 v12, v0, v8
	v_fma_f32 v8, v8, v1, -v9
	v_cvt_f64_f32_e32 v[0:1], v12
	v_cvt_f64_f32_e32 v[8:9], v8
	v_mov_b32_e32 v12, s4
	v_addc_co_u32_e32 v5, vcc, v5, v12, vcc
	v_mul_f64 v[0:1], v[0:1], s[0:1]
	v_mul_f64 v[8:9], v[8:9], s[0:1]
	v_cvt_f32_f64_e32 v0, v[0:1]
	v_cvt_f32_f64_e32 v1, v[8:9]
	global_store_dwordx2 v[4:5], v[0:1], off
	global_load_dwordx2 v[0:1], v[6:7], off offset:2816
	v_add_co_u32_e32 v4, vcc, s3, v4
	s_waitcnt vmcnt(0)
	v_mul_f32_e32 v8, v3, v1
	v_mul_f32_e32 v1, v2, v1
	v_fmac_f32_e32 v8, v2, v0
	v_fma_f32 v2, v0, v3, -v1
	v_cvt_f64_f32_e32 v[0:1], v8
	v_cvt_f64_f32_e32 v[2:3], v2
	v_mov_b32_e32 v8, s4
	v_addc_co_u32_e32 v5, vcc, v5, v8, vcc
	v_mul_f64 v[0:1], v[0:1], s[0:1]
	v_mul_f64 v[2:3], v[2:3], s[0:1]
	v_cvt_f32_f64_e32 v0, v[0:1]
	v_cvt_f32_f64_e32 v1, v[2:3]
	global_store_dwordx2 v[4:5], v[0:1], off
	global_load_dwordx2 v[6:7], v[6:7], off offset:3680
	v_add_u32_e32 v0, 0x1c00, v111
	ds_read2_b64 v[0:3], v0 offset0:76 offset1:184
	s_waitcnt vmcnt(0) lgkmcnt(0)
	v_mul_f32_e32 v8, v1, v7
	v_mul_f32_e32 v7, v0, v7
	v_fmac_f32_e32 v8, v0, v6
	v_fma_f32 v6, v6, v1, -v7
	v_cvt_f64_f32_e32 v[0:1], v8
	v_cvt_f64_f32_e32 v[6:7], v6
	v_add_co_u32_e32 v8, vcc, s2, v10
	v_mul_f64 v[0:1], v[0:1], s[0:1]
	v_mul_f64 v[6:7], v[6:7], s[0:1]
	v_addc_co_u32_e32 v9, vcc, 0, v11, vcc
	v_add_co_u32_e32 v4, vcc, s3, v4
	v_addc_co_u32_e32 v5, vcc, v5, v12, vcc
	v_cvt_f32_f64_e32 v0, v[0:1]
	v_cvt_f32_f64_e32 v1, v[6:7]
	s_movk_i32 s2, 0x3000
	global_store_dwordx2 v[4:5], v[0:1], off
	global_load_dwordx2 v[0:1], v[8:9], off offset:448
	v_add_co_u32_e32 v4, vcc, s3, v4
	s_waitcnt vmcnt(0)
	v_mul_f32_e32 v6, v3, v1
	v_mul_f32_e32 v1, v2, v1
	v_fmac_f32_e32 v6, v2, v0
	v_fma_f32 v2, v0, v3, -v1
	v_cvt_f64_f32_e32 v[0:1], v6
	v_cvt_f64_f32_e32 v[2:3], v2
	v_mov_b32_e32 v6, s4
	v_addc_co_u32_e32 v5, vcc, v5, v6, vcc
	v_mul_f64 v[0:1], v[0:1], s[0:1]
	v_mul_f64 v[2:3], v[2:3], s[0:1]
	v_cvt_f32_f64_e32 v0, v[0:1]
	v_cvt_f32_f64_e32 v1, v[2:3]
	global_store_dwordx2 v[4:5], v[0:1], off
	global_load_dwordx2 v[6:7], v[8:9], off offset:1312
	v_add_u32_e32 v0, 0x2400, v111
	ds_read2_b64 v[0:3], v0 offset0:36 offset1:144
	v_add_co_u32_e32 v4, vcc, s3, v4
	s_waitcnt vmcnt(0) lgkmcnt(0)
	v_mul_f32_e32 v12, v1, v7
	v_mul_f32_e32 v7, v0, v7
	v_fmac_f32_e32 v12, v0, v6
	v_fma_f32 v6, v6, v1, -v7
	v_cvt_f64_f32_e32 v[0:1], v12
	v_cvt_f64_f32_e32 v[6:7], v6
	v_mov_b32_e32 v12, s4
	v_addc_co_u32_e32 v5, vcc, v5, v12, vcc
	v_mul_f64 v[0:1], v[0:1], s[0:1]
	v_mul_f64 v[6:7], v[6:7], s[0:1]
	v_cvt_f32_f64_e32 v0, v[0:1]
	v_cvt_f32_f64_e32 v1, v[6:7]
	global_store_dwordx2 v[4:5], v[0:1], off
	global_load_dwordx2 v[0:1], v[8:9], off offset:2176
	v_add_co_u32_e32 v4, vcc, s3, v4
	s_waitcnt vmcnt(0)
	v_mul_f32_e32 v6, v3, v1
	v_mul_f32_e32 v1, v2, v1
	v_fmac_f32_e32 v6, v2, v0
	v_fma_f32 v2, v0, v3, -v1
	v_cvt_f64_f32_e32 v[0:1], v6
	v_cvt_f64_f32_e32 v[2:3], v2
	v_mov_b32_e32 v6, s4
	v_addc_co_u32_e32 v5, vcc, v5, v6, vcc
	v_mul_f64 v[0:1], v[0:1], s[0:1]
	v_mul_f64 v[2:3], v[2:3], s[0:1]
	v_cvt_f32_f64_e32 v0, v[0:1]
	v_cvt_f32_f64_e32 v1, v[2:3]
	global_store_dwordx2 v[4:5], v[0:1], off
	global_load_dwordx2 v[6:7], v[8:9], off offset:3040
	v_add_u32_e32 v0, 0x2800, v111
	ds_read2_b64 v[0:3], v0 offset0:124 offset1:232
	v_add_co_u32_e32 v4, vcc, s3, v4
	s_waitcnt vmcnt(0) lgkmcnt(0)
	v_mul_f32_e32 v12, v1, v7
	v_mul_f32_e32 v7, v0, v7
	v_fmac_f32_e32 v12, v0, v6
	v_fma_f32 v6, v6, v1, -v7
	v_cvt_f64_f32_e32 v[0:1], v12
	v_cvt_f64_f32_e32 v[6:7], v6
	v_mov_b32_e32 v12, s4
	v_addc_co_u32_e32 v5, vcc, v5, v12, vcc
	v_mul_f64 v[0:1], v[0:1], s[0:1]
	v_mul_f64 v[6:7], v[6:7], s[0:1]
	v_cvt_f32_f64_e32 v0, v[0:1]
	v_cvt_f32_f64_e32 v1, v[6:7]
	global_store_dwordx2 v[4:5], v[0:1], off
	global_load_dwordx2 v[0:1], v[8:9], off offset:3904
	v_mov_b32_e32 v8, s4
	s_waitcnt vmcnt(0)
	v_mul_f32_e32 v6, v3, v1
	v_mul_f32_e32 v1, v2, v1
	v_fmac_f32_e32 v6, v2, v0
	v_fma_f32 v2, v0, v3, -v1
	v_cvt_f64_f32_e32 v[0:1], v6
	v_cvt_f64_f32_e32 v[2:3], v2
	v_add_co_u32_e32 v6, vcc, s2, v10
	v_mul_f64 v[0:1], v[0:1], s[0:1]
	v_mul_f64 v[2:3], v[2:3], s[0:1]
	v_addc_co_u32_e32 v7, vcc, 0, v11, vcc
	v_add_co_u32_e32 v4, vcc, s3, v4
	v_addc_co_u32_e32 v5, vcc, v5, v8, vcc
	v_cvt_f32_f64_e32 v0, v[0:1]
	v_cvt_f32_f64_e32 v1, v[2:3]
	global_store_dwordx2 v[4:5], v[0:1], off
	global_load_dwordx2 v[8:9], v[6:7], off offset:672
	v_add_u32_e32 v0, 0x3000, v111
	ds_read2_b64 v[0:3], v0 offset0:84 offset1:192
	v_add_co_u32_e32 v4, vcc, s3, v4
	s_waitcnt vmcnt(0) lgkmcnt(0)
	v_mul_f32_e32 v10, v1, v9
	v_mul_f32_e32 v9, v0, v9
	v_fmac_f32_e32 v10, v0, v8
	v_fma_f32 v8, v8, v1, -v9
	v_cvt_f64_f32_e32 v[0:1], v10
	v_cvt_f64_f32_e32 v[8:9], v8
	v_mov_b32_e32 v10, s4
	v_addc_co_u32_e32 v5, vcc, v5, v10, vcc
	v_mul_f64 v[0:1], v[0:1], s[0:1]
	v_mul_f64 v[8:9], v[8:9], s[0:1]
	v_cvt_f32_f64_e32 v0, v[0:1]
	v_cvt_f32_f64_e32 v1, v[8:9]
	global_store_dwordx2 v[4:5], v[0:1], off
	global_load_dwordx2 v[0:1], v[6:7], off offset:1536
	s_waitcnt vmcnt(0)
	v_mul_f32_e32 v6, v3, v1
	v_mul_f32_e32 v1, v2, v1
	v_fmac_f32_e32 v6, v2, v0
	v_fma_f32 v2, v0, v3, -v1
	v_cvt_f64_f32_e32 v[0:1], v6
	v_cvt_f64_f32_e32 v[2:3], v2
	v_mov_b32_e32 v6, s4
	v_mul_f64 v[0:1], v[0:1], s[0:1]
	v_mul_f64 v[2:3], v[2:3], s[0:1]
	v_cvt_f32_f64_e32 v0, v[0:1]
	v_cvt_f32_f64_e32 v1, v[2:3]
	v_add_co_u32_e32 v2, vcc, s3, v4
	v_addc_co_u32_e32 v3, vcc, v5, v6, vcc
	global_store_dwordx2 v[2:3], v[0:1], off
.LBB0_15:
	s_endpgm
	.section	.rodata,"a",@progbits
	.p2align	6, 0x0
	.amdhsa_kernel bluestein_single_back_len1836_dim1_sp_op_CI_CI
		.amdhsa_group_segment_fixed_size 14688
		.amdhsa_private_segment_fixed_size 24
		.amdhsa_kernarg_size 104
		.amdhsa_user_sgpr_count 6
		.amdhsa_user_sgpr_private_segment_buffer 1
		.amdhsa_user_sgpr_dispatch_ptr 0
		.amdhsa_user_sgpr_queue_ptr 0
		.amdhsa_user_sgpr_kernarg_segment_ptr 1
		.amdhsa_user_sgpr_dispatch_id 0
		.amdhsa_user_sgpr_flat_scratch_init 0
		.amdhsa_user_sgpr_private_segment_size 0
		.amdhsa_uses_dynamic_stack 0
		.amdhsa_system_sgpr_private_segment_wavefront_offset 1
		.amdhsa_system_sgpr_workgroup_id_x 1
		.amdhsa_system_sgpr_workgroup_id_y 0
		.amdhsa_system_sgpr_workgroup_id_z 0
		.amdhsa_system_sgpr_workgroup_info 0
		.amdhsa_system_vgpr_workitem_id 0
		.amdhsa_next_free_vgpr 256
		.amdhsa_next_free_sgpr 24
		.amdhsa_reserve_vcc 1
		.amdhsa_reserve_flat_scratch 0
		.amdhsa_float_round_mode_32 0
		.amdhsa_float_round_mode_16_64 0
		.amdhsa_float_denorm_mode_32 3
		.amdhsa_float_denorm_mode_16_64 3
		.amdhsa_dx10_clamp 1
		.amdhsa_ieee_mode 1
		.amdhsa_fp16_overflow 0
		.amdhsa_exception_fp_ieee_invalid_op 0
		.amdhsa_exception_fp_denorm_src 0
		.amdhsa_exception_fp_ieee_div_zero 0
		.amdhsa_exception_fp_ieee_overflow 0
		.amdhsa_exception_fp_ieee_underflow 0
		.amdhsa_exception_fp_ieee_inexact 0
		.amdhsa_exception_int_div_zero 0
	.end_amdhsa_kernel
	.text
.Lfunc_end0:
	.size	bluestein_single_back_len1836_dim1_sp_op_CI_CI, .Lfunc_end0-bluestein_single_back_len1836_dim1_sp_op_CI_CI
                                        ; -- End function
	.section	.AMDGPU.csdata,"",@progbits
; Kernel info:
; codeLenInByte = 20400
; NumSgprs: 28
; NumVgprs: 256
; ScratchSize: 24
; MemoryBound: 0
; FloatMode: 240
; IeeeMode: 1
; LDSByteSize: 14688 bytes/workgroup (compile time only)
; SGPRBlocks: 3
; VGPRBlocks: 63
; NumSGPRsForWavesPerEU: 28
; NumVGPRsForWavesPerEU: 256
; Occupancy: 1
; WaveLimiterHint : 1
; COMPUTE_PGM_RSRC2:SCRATCH_EN: 1
; COMPUTE_PGM_RSRC2:USER_SGPR: 6
; COMPUTE_PGM_RSRC2:TRAP_HANDLER: 0
; COMPUTE_PGM_RSRC2:TGID_X_EN: 1
; COMPUTE_PGM_RSRC2:TGID_Y_EN: 0
; COMPUTE_PGM_RSRC2:TGID_Z_EN: 0
; COMPUTE_PGM_RSRC2:TIDIG_COMP_CNT: 0
	.type	__hip_cuid_f338fa99e67021ad,@object ; @__hip_cuid_f338fa99e67021ad
	.section	.bss,"aw",@nobits
	.globl	__hip_cuid_f338fa99e67021ad
__hip_cuid_f338fa99e67021ad:
	.byte	0                               ; 0x0
	.size	__hip_cuid_f338fa99e67021ad, 1

	.ident	"AMD clang version 19.0.0git (https://github.com/RadeonOpenCompute/llvm-project roc-6.4.0 25133 c7fe45cf4b819c5991fe208aaa96edf142730f1d)"
	.section	".note.GNU-stack","",@progbits
	.addrsig
	.addrsig_sym __hip_cuid_f338fa99e67021ad
	.amdgpu_metadata
---
amdhsa.kernels:
  - .args:
      - .actual_access:  read_only
        .address_space:  global
        .offset:         0
        .size:           8
        .value_kind:     global_buffer
      - .actual_access:  read_only
        .address_space:  global
        .offset:         8
        .size:           8
        .value_kind:     global_buffer
      - .actual_access:  read_only
        .address_space:  global
        .offset:         16
        .size:           8
        .value_kind:     global_buffer
      - .actual_access:  read_only
        .address_space:  global
        .offset:         24
        .size:           8
        .value_kind:     global_buffer
      - .actual_access:  read_only
        .address_space:  global
        .offset:         32
        .size:           8
        .value_kind:     global_buffer
      - .offset:         40
        .size:           8
        .value_kind:     by_value
      - .address_space:  global
        .offset:         48
        .size:           8
        .value_kind:     global_buffer
      - .address_space:  global
        .offset:         56
        .size:           8
        .value_kind:     global_buffer
      - .address_space:  global
        .offset:         64
        .size:           8
        .value_kind:     global_buffer
      - .address_space:  global
        .offset:         72
        .size:           8
        .value_kind:     global_buffer
      - .offset:         80
        .size:           4
        .value_kind:     by_value
      - .address_space:  global
        .offset:         88
        .size:           8
        .value_kind:     global_buffer
      - .address_space:  global
        .offset:         96
        .size:           8
        .value_kind:     global_buffer
    .group_segment_fixed_size: 14688
    .kernarg_segment_align: 8
    .kernarg_segment_size: 104
    .language:       OpenCL C
    .language_version:
      - 2
      - 0
    .max_flat_workgroup_size: 153
    .name:           bluestein_single_back_len1836_dim1_sp_op_CI_CI
    .private_segment_fixed_size: 24
    .sgpr_count:     28
    .sgpr_spill_count: 0
    .symbol:         bluestein_single_back_len1836_dim1_sp_op_CI_CI.kd
    .uniform_work_group_size: 1
    .uses_dynamic_stack: false
    .vgpr_count:     256
    .vgpr_spill_count: 5
    .wavefront_size: 64
amdhsa.target:   amdgcn-amd-amdhsa--gfx906
amdhsa.version:
  - 1
  - 2
...

	.end_amdgpu_metadata
